;; amdgpu-corpus repo=triton-lang/triton kind=triton arch=gfx90a opt=O3 lang=triton
	.amdgcn_target "amdgcn-amd-amdhsa--gfx90a"
	.amdhsa_code_object_version 5
	.text
	.globl	_attn_bwd                       ; -- Begin function _attn_bwd
	.p2align	8
	.type	_attn_bwd,@function
_attn_bwd:                              ; @_attn_bwd
.Lfunc_begin0:
	.cfi_sections .debug_frame
	.cfi_startproc
; %bb.54:
	.file	1 "/root/src/amdgpu-assembly/repos/triton-lang__triton-aot" "attention_bwd.py"
	.loc	1 126 0 prologue_end            ; attention_bwd.py:126:0
	s_load_dwordx2 s[6:7], s[4:5], 0x0
	s_load_dwordx8 s[8:15], s[4:5], 0x8
	s_waitcnt lgkmcnt(0)
	s_branch .LBB0_0
	.loc	1 0 0 is_stmt 0                 ; :0:0
.Ltmp0:
	.p2align	8
; %bb.55:
.LBB0_0:
	s_load_dwordx8 s[20:27], s[4:5], 0x48
	s_mov_b64 s[54:55], s[2:3]
	s_mov_b64 s[52:53], s[0:1]
	s_add_u32 s52, s52, s18
	s_addc_u32 s53, s53, 0
.Ltmp1:
	.loc	1 144 55 is_stmt 1              ; attention_bwd.py:144:55
	s_waitcnt lgkmcnt(0)
	s_abs_i32 s0, s26
	v_mov_b32_e32 v182, v0
	v_cvt_f32_u32_e32 v0, s0
	s_load_dwordx8 s[36:43], s[4:5], 0x28
	s_sub_i32 s3, 0, s0
	s_abs_i32 s2, s17
	v_rcp_iflag_f32_e32 v0, v0
	.loc	1 143 22                        ; attention_bwd.py:143:22
	s_mul_i32 s18, s27, s17
	.loc	1 144 55                        ; attention_bwd.py:144:55
	s_xor_b32 s1, s17, s26
	.loc	1 143 32                        ; attention_bwd.py:143:32
	s_ashr_i32 s19, s18, 31
	.loc	1 144 55                        ; attention_bwd.py:144:55
	v_mul_f32_e32 v0, 0x4f7ffffe, v0
	v_cvt_u32_f32_e32 v0, v0
	s_ashr_i32 s1, s1, 31
	.loc	1 171 16                        ; attention_bwd.py:171:16
	v_lshlrev_b32_e32 v104, 1, v182
	.loc	1 165 36                        ; attention_bwd.py:165:36
	v_and_b32_e32 v216, 31, v182
	.loc	1 144 55                        ; attention_bwd.py:144:55
	v_readfirstlane_b32 s4, v0
	s_mul_i32 s3, s3, s4
	s_mul_hi_u32 s3, s4, s3
	s_add_i32 s4, s4, s3
	s_mul_hi_u32 s3, s2, s4
	s_mul_i32 s4, s3, s0
	s_sub_i32 s2, s2, s4
	s_add_i32 s4, s3, 1
	s_sub_i32 s5, s2, s0
	s_cmp_ge_u32 s2, s0
	s_cselect_b32 s3, s4, s3
	s_cselect_b32 s2, s5, s2
	s_add_i32 s4, s3, 1
	s_cmp_ge_u32 s2, s0
	s_cselect_b32 s0, s4, s3
	s_xor_b32 s0, s0, s1
	s_sub_i32 s0, s0, s1
	.loc	1 144 30 is_stmt 0              ; attention_bwd.py:144:30
	s_mul_i32 s1, s0, s26
	s_sub_i32 s1, s17, s1
	.loc	1 144 23                        ; attention_bwd.py:144:23
	s_mul_i32 s1, s1, s23
	.loc	1 144 47                        ; attention_bwd.py:144:47
	s_mul_i32 s0, s0, s22
	.loc	1 144 35                        ; attention_bwd.py:144:35
	s_add_i32 s0, s0, s1
	.loc	1 144 62                        ; attention_bwd.py:144:62
	s_ashr_i32 s1, s0, 31
	.loc	1 148 9 is_stmt 1               ; attention_bwd.py:148:9
	s_lshl_b64 s[4:5], s[0:1], 1
	s_add_u32 s35, s6, s4
	s_addc_u32 s48, s7, s5
	.loc	1 149 9                         ; attention_bwd.py:149:9
	s_add_u32 s2, s8, s4
	s_addc_u32 s3, s9, s5
	.loc	1 150 9                         ; attention_bwd.py:150:9
	s_add_u32 s0, s10, s4
	s_addc_u32 s1, s11, s5
	.loc	1 151 10                        ; attention_bwd.py:151:10
	s_add_u32 s33, s14, s4
	s_addc_u32 s34, s15, s5
	.loc	1 155 9                         ; attention_bwd.py:155:9
	s_lshl_b64 s[18:19], s[18:19], 2
	s_waitcnt lgkmcnt(0)
	s_add_u32 s44, s42, s18
	s_addc_u32 s23, s43, s19
	.loc	1 156 9                         ; attention_bwd.py:156:9
	s_add_u32 s28, s20, s18
	s_addc_u32 s22, s21, s19
	.loc	1 161 20                        ; attention_bwd.py:161:20
	s_lshl_b32 s26, s16, 6
	.loc	1 165 36                        ; attention_bwd.py:165:36
	v_lshrrev_b32_e32 v0, 7, v182
	v_or_b32_e32 v1, s26, v0
	.loc	1 165 23 is_stmt 0              ; attention_bwd.py:165:23
	v_or_b32_e32 v3, 4, v1
	.loc	1 171 38 is_stmt 1              ; attention_bwd.py:171:38
	v_mul_lo_u32 v2, s24, v1
	v_mul_lo_u32 v4, s24, v3
	.loc	1 171 20 is_stmt 0              ; attention_bwd.py:171:20
	v_ashrrev_i32_e32 v3, 31, v2
	.loc	1 165 23 is_stmt 1              ; attention_bwd.py:165:23
	v_or_b32_e32 v5, 8, v1
	v_or_b32_e32 v27, 52, v1
	.loc	1 171 20                        ; attention_bwd.py:171:20
	v_lshlrev_b64 v[136:137], 1, v[2:3]
	.loc	1 165 23                        ; attention_bwd.py:165:23
	v_or_b32_e32 v7, 12, v1
	v_or_b32_e32 v9, 16, v1
	v_or_b32_e32 v11, 20, v1
	v_or_b32_e32 v13, 24, v1
	v_or_b32_e32 v15, 28, v1
	v_or_b32_e32 v17, 32, v1
	v_or_b32_e32 v19, 36, v1
	v_or_b32_e32 v21, 40, v1
	v_or_b32_e32 v23, 44, v1
	v_or_b32_e32 v25, 48, v1
	v_or_b32_e32 v29, 56, v1
	v_or_b32_e32 v31, 60, v1
	.loc	1 171 38                        ; attention_bwd.py:171:38
	v_mul_lo_u32 v6, s24, v5
	v_mul_lo_u32 v28, s24, v27
	.loc	1 171 20 is_stmt 0              ; attention_bwd.py:171:20
	v_mov_b32_e32 v1, s3
	v_add_co_u32_e32 v27, vcc, s2, v136
	v_ashrrev_i32_e32 v5, 31, v4
	v_addc_co_u32_e32 v1, vcc, v1, v137, vcc
	v_lshlrev_b64 v[138:139], 1, v[4:5]
	.loc	1 171 38                        ; attention_bwd.py:171:38
	v_mul_lo_u32 v8, s24, v7
	.loc	1 171 20                        ; attention_bwd.py:171:20
	v_mov_b32_e32 v2, s3
	v_add_co_u32_e32 v34, vcc, s2, v138
	v_ashrrev_i32_e32 v7, 31, v6
	v_addc_co_u32_e32 v35, vcc, v2, v139, vcc
	v_lshlrev_b64 v[140:141], 1, v[6:7]
	.loc	1 171 38                        ; attention_bwd.py:171:38
	v_mul_lo_u32 v10, s24, v9
	.loc	1 171 20                        ; attention_bwd.py:171:20
	v_add_co_u32_e32 v6, vcc, s2, v140
	v_ashrrev_i32_e32 v9, 31, v8
	v_addc_co_u32_e32 v7, vcc, v2, v141, vcc
	v_lshlrev_b64 v[142:143], 1, v[8:9]
	.loc	1 171 38                        ; attention_bwd.py:171:38
	v_mul_lo_u32 v12, s24, v11
	.loc	1 171 20                        ; attention_bwd.py:171:20
	;; [unrolled: 7-line block ×8, first 2 shown]
	v_add_co_u32_e32 v18, vcc, s2, v196
	v_ashrrev_i32_e32 v23, 31, v22
	v_addc_co_u32_e32 v19, vcc, v2, v197, vcc
	v_lshlrev_b64 v[198:199], 1, v[22:23]
	v_add_co_u32_e32 v20, vcc, s2, v198
	v_addc_co_u32_e32 v21, vcc, v2, v199, vcc
	.loc	1 171 58                        ; attention_bwd.py:171:58
	v_and_b32_e32 v2, 0x7f, v182
	.loc	1 171 69                        ; attention_bwd.py:171:69
	v_mul_lo_u32 v2, s25, v2
	.loc	1 171 51                        ; attention_bwd.py:171:51
	v_ashrrev_i32_e32 v3, 31, v2
	v_lshlrev_b64 v[150:151], 1, v[2:3]
	.loc	1 171 38                        ; attention_bwd.py:171:38
	v_mul_lo_u32 v26, s24, v25
	.loc	1 171 20                        ; attention_bwd.py:171:20
	v_ashrrev_i32_e32 v25, 31, v24
	.loc	1 171 51                        ; attention_bwd.py:171:51
	v_add_co_u32_e32 v2, vcc, v27, v150
	.loc	1 171 20                        ; attention_bwd.py:171:20
	v_lshlrev_b64 v[200:201], 1, v[24:25]
	.loc	1 171 51                        ; attention_bwd.py:171:51
	v_addc_co_u32_e32 v3, vcc, v1, v151, vcc
	.loc	1 171 20                        ; attention_bwd.py:171:20
	v_mov_b32_e32 v22, s3
	v_add_co_u32_e32 v1, vcc, s2, v200
	v_addc_co_u32_e32 v22, vcc, v22, v201, vcc
	v_ashrrev_i32_e32 v27, 31, v26
	.loc	1 171 51                        ; attention_bwd.py:171:51
	v_add_co_u32_e32 v4, vcc, v4, v150
	.loc	1 171 20                        ; attention_bwd.py:171:20
	v_lshlrev_b64 v[202:203], 1, v[26:27]
	.loc	1 171 51                        ; attention_bwd.py:171:51
	v_addc_co_u32_e32 v5, vcc, v5, v151, vcc
	.loc	1 171 20                        ; attention_bwd.py:171:20
	v_mov_b32_e32 v23, s3
	v_add_co_u32_e32 v24, vcc, s2, v202
	.loc	1 171 38                        ; attention_bwd.py:171:38
	v_mul_lo_u32 v30, s24, v29
	.loc	1 171 20                        ; attention_bwd.py:171:20
	v_addc_co_u32_e32 v23, vcc, v23, v203, vcc
	v_ashrrev_i32_e32 v29, 31, v28
	v_lshlrev_b64 v[208:209], 1, v[28:29]
	.loc	1 171 16                        ; attention_bwd.py:171:16
	global_load_ushort v28, v[2:3], off
	global_load_ushort v29, v[4:5], off
	.loc	1 171 51                        ; attention_bwd.py:171:51
	v_add_co_u32_e32 v2, vcc, v16, v150
	v_addc_co_u32_e32 v3, vcc, v17, v151, vcc
	.loc	1 171 20                        ; attention_bwd.py:171:20
	v_mov_b32_e32 v4, s3
	v_add_co_u32_e32 v25, vcc, s2, v208
	v_addc_co_u32_e32 v26, vcc, v4, v209, vcc
	.loc	1 171 38                        ; attention_bwd.py:171:38
	v_mul_lo_u32 v32, s24, v31
	.loc	1 171 20                        ; attention_bwd.py:171:20
	v_ashrrev_i32_e32 v31, 31, v30
	.loc	1 171 51                        ; attention_bwd.py:171:51
	v_add_co_u32_e32 v4, vcc, v24, v150
	.loc	1 171 20                        ; attention_bwd.py:171:20
	v_lshlrev_b64 v[210:211], 1, v[30:31]
	.loc	1 171 51                        ; attention_bwd.py:171:51
	v_addc_co_u32_e32 v5, vcc, v23, v151, vcc
	.loc	1 171 20                        ; attention_bwd.py:171:20
	v_mov_b32_e32 v16, s3
	v_add_co_u32_e32 v23, vcc, s2, v210
	v_addc_co_u32_e32 v24, vcc, v16, v211, vcc
	.loc	1 171 16                        ; attention_bwd.py:171:16
	global_load_ushort v30, v[2:3], off
	global_load_ushort v31, v[4:5], off
	.loc	1 171 51                        ; attention_bwd.py:171:51
	v_add_co_u32_e32 v2, vcc, v34, v150
	v_addc_co_u32_e32 v3, vcc, v35, v151, vcc
	v_add_co_u32_e32 v4, vcc, v6, v150
	v_addc_co_u32_e32 v5, vcc, v7, v151, vcc
	;; [unrolled: 2-line block ×10, first 2 shown]
	.loc	1 171 20                        ; attention_bwd.py:171:20
	v_ashrrev_i32_e32 v33, 31, v32
	.loc	1 171 51                        ; attention_bwd.py:171:51
	v_add_co_u32_e32 v22, vcc, v23, v150
	.loc	1 171 20                        ; attention_bwd.py:171:20
	v_lshlrev_b64 v[212:213], 1, v[32:33]
	.loc	1 171 51                        ; attention_bwd.py:171:51
	v_addc_co_u32_e32 v23, vcc, v24, v151, vcc
	.loc	1 171 20                        ; attention_bwd.py:171:20
	v_mov_b32_e32 v27, s3
	v_add_co_u32_e32 v1, vcc, s2, v212
	v_addc_co_u32_e32 v24, vcc, v27, v213, vcc
	.loc	1 171 16                        ; attention_bwd.py:171:16
	global_load_ushort v25, v[2:3], off
	global_load_ushort v26, v[8:9], off
	;; [unrolled: 1-line block ×8, first 2 shown]
	.loc	1 171 51                        ; attention_bwd.py:171:51
	v_add_co_u32_e32 v2, vcc, v1, v150
	v_addc_co_u32_e32 v3, vcc, v24, v151, vcc
	.loc	1 171 16                        ; attention_bwd.py:171:16
	global_load_ushort v4, v[12:13], off
	global_load_ushort v5, v[6:7], off
	;; [unrolled: 1-line block ×4, first 2 shown]
	.loc	1 165 36 is_stmt 1              ; attention_bwd.py:165:36
	v_and_b32_e32 v2, 0x180, v182
	.loc	1 171 16                        ; attention_bwd.py:171:16
	v_lshrrev_b32_e32 v2, 4, v2
	v_xor_b32_e32 v2, v104, v2
	v_xor_b32_e32 v3, 32, v2
	v_add_u32_e32 v204, 0, v2
	v_add_u32_e32 v205, 0, v3
	v_xor_b32_e32 v3, 64, v2
	v_xor_b32_e32 v2, 0x60, v2
	v_add_u32_e32 v206, 0, v3
	v_add_u32_e32 v207, 0, v2
	.loc	1 172 20                        ; attention_bwd.py:172:20
	v_mov_b32_e32 v2, s1
	v_add_co_u32_e32 v3, vcc, s0, v136
	.loc	1 171 16                        ; attention_bwd.py:171:16
	s_waitcnt vmcnt(2)
	ds_write_b16 v207, v5 offset:3072
	ds_write_b16 v207, v4 offset:7168
	s_waitcnt vmcnt(0)
	ds_write_b16 v207, v9 offset:11264
	ds_write_b16 v207, v8 offset:15360
	.loc	1 172 20                        ; attention_bwd.py:172:20
	v_addc_co_u32_e32 v4, vcc, v2, v137, vcc
	v_add_co_u32_e32 v5, vcc, s0, v138
	v_addc_co_u32_e32 v6, vcc, v2, v139, vcc
	v_add_co_u32_e32 v7, vcc, s0, v140
	;; [unrolled: 2-line block ×7, first 2 shown]
	v_addc_co_u32_e32 v18, vcc, v2, v189, vcc
	.loc	1 172 51 is_stmt 0              ; attention_bwd.py:172:51
	v_add_co_u32_e32 v2, vcc, v3, v150
	v_addc_co_u32_e32 v3, vcc, v4, v151, vcc
	.loc	1 172 20                        ; attention_bwd.py:172:20
	v_mov_b32_e32 v4, s1
	v_add_co_u32_e32 v19, vcc, s0, v190
	v_addc_co_u32_e32 v20, vcc, v4, v191, vcc
	.loc	1 172 51                        ; attention_bwd.py:172:51
	v_add_co_u32_e32 v4, vcc, v5, v150
	v_addc_co_u32_e32 v5, vcc, v6, v151, vcc
	.loc	1 172 20                        ; attention_bwd.py:172:20
	v_mov_b32_e32 v6, s1
	v_add_co_u32_e32 v21, vcc, s0, v196
	v_addc_co_u32_e32 v22, vcc, v6, v197, vcc
	.loc	1 172 51                        ; attention_bwd.py:172:51
	v_add_co_u32_e32 v6, vcc, v7, v150
	v_addc_co_u32_e32 v7, vcc, v8, v151, vcc
	.loc	1 172 20                        ; attention_bwd.py:172:20
	v_mov_b32_e32 v8, s1
	v_add_co_u32_e32 v23, vcc, s0, v198
	v_addc_co_u32_e32 v24, vcc, v8, v199, vcc
	.loc	1 172 51                        ; attention_bwd.py:172:51
	v_add_co_u32_e32 v8, vcc, v9, v150
	v_addc_co_u32_e32 v9, vcc, v10, v151, vcc
	.loc	1 171 16 is_stmt 1              ; attention_bwd.py:171:16
	ds_write_b16 v205, v25 offset:1024
	ds_write_b16 v205, v26 offset:5120
	;; [unrolled: 1-line block ×4, first 2 shown]
	.loc	1 172 20                        ; attention_bwd.py:172:20
	v_mov_b32_e32 v10, s1
	v_add_co_u32_e32 v25, vcc, s0, v200
	v_addc_co_u32_e32 v26, vcc, v10, v201, vcc
	.loc	1 172 51 is_stmt 0              ; attention_bwd.py:172:51
	v_add_co_u32_e32 v10, vcc, v11, v150
	v_addc_co_u32_e32 v11, vcc, v12, v151, vcc
	.loc	1 172 20                        ; attention_bwd.py:172:20
	v_mov_b32_e32 v12, s1
	v_add_co_u32_e32 v27, vcc, s0, v202
	.loc	1 171 16 is_stmt 1              ; attention_bwd.py:171:16
	ds_write_b16 v204, v28
	ds_write_b16 v204, v29 offset:4096
	ds_write_b16 v204, v30 offset:8192
	;; [unrolled: 1-line block ×3, first 2 shown]
	.loc	1 172 20                        ; attention_bwd.py:172:20
	v_addc_co_u32_e32 v28, vcc, v12, v203, vcc
	.loc	1 172 51 is_stmt 0              ; attention_bwd.py:172:51
	v_add_co_u32_e32 v12, vcc, v13, v150
	v_addc_co_u32_e32 v13, vcc, v14, v151, vcc
	.loc	1 172 20                        ; attention_bwd.py:172:20
	v_mov_b32_e32 v14, s1
	v_add_co_u32_e32 v29, vcc, s0, v208
	v_addc_co_u32_e32 v30, vcc, v14, v209, vcc
	.loc	1 172 51                        ; attention_bwd.py:172:51
	v_add_co_u32_e32 v14, vcc, v15, v150
	v_addc_co_u32_e32 v15, vcc, v16, v151, vcc
	.loc	1 172 20                        ; attention_bwd.py:172:20
	v_mov_b32_e32 v16, s1
	v_add_co_u32_e32 v31, vcc, s0, v210
	v_addc_co_u32_e32 v32, vcc, v16, v211, vcc
	.loc	1 172 51                        ; attention_bwd.py:172:51
	v_add_co_u32_e32 v16, vcc, v17, v150
	v_addc_co_u32_e32 v17, vcc, v18, v151, vcc
	.loc	1 171 16 is_stmt 1              ; attention_bwd.py:171:16
	ds_write_b16 v206, v33 offset:2048
	ds_write_b16 v206, v34 offset:6144
	;; [unrolled: 1-line block ×4, first 2 shown]
	s_waitcnt lgkmcnt(0)
	s_barrier
	.loc	1 172 20                        ; attention_bwd.py:172:20
	v_mov_b32_e32 v18, s1
	.loc	1 172 16 is_stmt 0              ; attention_bwd.py:172:16
	global_load_ushort v33, v[2:3], off
	global_load_ushort v34, v[4:5], off
	;; [unrolled: 1-line block ×8, first 2 shown]
	.loc	1 172 20                        ; attention_bwd.py:172:20
	v_add_co_u32_e32 v16, vcc, s0, v212
	v_addc_co_u32_e32 v17, vcc, v18, v213, vcc
	.loc	1 172 51                        ; attention_bwd.py:172:51
	v_add_co_u32_e32 v2, vcc, v19, v150
	v_addc_co_u32_e32 v3, vcc, v20, v151, vcc
	v_add_co_u32_e32 v4, vcc, v21, v150
	v_addc_co_u32_e32 v5, vcc, v22, v151, vcc
	;; [unrolled: 2-line block ×8, first 2 shown]
	.loc	1 172 16                        ; attention_bwd.py:172:16
	global_load_ushort v20, v[2:3], off
	global_load_ushort v21, v[4:5], off
	;; [unrolled: 1-line block ×8, first 2 shown]
	.loc	1 191 37 is_stmt 1              ; attention_bwd.py:191:37
	s_ashr_i32 s0, s27, 31
	s_lshr_b32 s0, s0, 27
	.loc	1 171 58                        ; attention_bwd.py:171:58
	v_and_b32_e32 v1, 32, v182
	.loc	1 191 37                        ; attention_bwd.py:191:37
	s_add_i32 s0, s27, s0
	.loc	1 171 58                        ; attention_bwd.py:171:58
	v_lshrrev_b32_e32 v183, 3, v1
	.loc	1 191 37                        ; attention_bwd.py:191:37
	s_ashr_i32 s13, s0, 5
.Ltmp2:
	.loc	1 72 28                         ; attention_bwd.py:72:28 @[ attention_bwd.py:200:26 ]
	s_lshl_b32 s16, s24, 5
	.loc	1 38 36                         ; attention_bwd.py:38:36 @[ attention_bwd.py:200:26 ]
	v_lshlrev_b32_e32 v2, 2, v183
	.loc	1 47 25                         ; attention_bwd.py:47:25 @[ attention_bwd.py:200:26 ]
	s_cmp_gt_i32 s27, 31
	.loc	1 51 20                         ; attention_bwd.py:51:20 @[ attention_bwd.py:200:26 ]
	v_bfrev_b32_e32 v3, 1
	.loc	1 47 25                         ; attention_bwd.py:47:25 @[ attention_bwd.py:200:26 ]
	s_cselect_b64 vcc, -1, 0
	.loc	1 51 20                         ; attention_bwd.py:51:20 @[ attention_bwd.py:200:26 ]
	v_or_b32_e32 v5, 4, v2
	v_or_b32_e32 v6, 8, v2
	;; [unrolled: 1-line block ×15, first 2 shown]
	v_lshrrev_b32_e32 v214, 1, v1
	v_cndmask_b32_e32 v19, v3, v2, vcc
.Ltmp3:
	.loc	1 171 16                        ; attention_bwd.py:171:16
	v_lshlrev_b32_e32 v2, 3, v182
.Ltmp4:
	.loc	1 51 20                         ; attention_bwd.py:51:20 @[ attention_bwd.py:200:26 ]
	v_cndmask_b32_e32 v4, v3, v214, vcc
	v_cndmask_b32_e32 v5, v3, v5, vcc
	;; [unrolled: 1-line block ×15, first 2 shown]
.Ltmp5:
	.loc	1 171 16                        ; attention_bwd.py:171:16
	v_and_b32_e32 v2, 0x78, v2
	v_lshrrev_b32_e32 v3, 2, v1
	.loc	1 165 36                        ; attention_bwd.py:165:36
	v_and_b32_e32 v215, 64, v182
	.loc	1 171 16                        ; attention_bwd.py:171:16
	v_xor_b32_e32 v109, v2, v3
	v_lshlrev_b32_e32 v110, 8, v216
	v_lshlrev_b32_e32 v2, 7, v215
	v_or3_b32 v2, v110, v2, v109
	buffer_store_dword v3, off, s[52:55], 0 offset:392 ; 4-byte Folded Spill
	v_xor_b32_e32 v3, 16, v2
	v_add_u32_e32 v221, 0, v3
	v_xor_b32_e32 v3, 32, v2
	v_add_u32_e32 v222, 0, v3
	;; [unrolled: 2-line block ×6, first 2 shown]
	v_xor_b32_e32 v2, 0x70, v2
.Ltmp6:
	.loc	1 51 20                         ; attention_bwd.py:51:20 @[ attention_bwd.py:200:26 ]
	s_and_b32 s45, s23, 0xffff
	s_mov_b32 s47, 0x27000
	s_mov_b32 s46, 0x7ffffffe
.Ltmp7:
	.loc	1 171 16                        ; attention_bwd.py:171:16
	v_add_u32_e32 v219, 0, v3
	v_add_u32_e32 v220, 0, v2
	ds_read2_b64 v[252:255], v224 offset1:16
	ds_read2_b64 v[248:251], v221 offset1:16
	;; [unrolled: 1-line block ×8, first 2 shown]
	.loc	1 172 16                        ; attention_bwd.py:172:16
	s_waitcnt lgkmcnt(0)
	s_barrier
	s_waitcnt vmcnt(16)
	ds_write_b16 v204, v33
	s_waitcnt vmcnt(12)
	ds_write_b16 v204, v37 offset:4096
	s_waitcnt vmcnt(8)
	ds_write_b16 v204, v20 offset:8192
	;; [unrolled: 2-line block ×3, first 2 shown]
	ds_write_b16 v205, v34 offset:1024
	ds_write_b16 v205, v38 offset:5120
	ds_write_b16 v205, v21 offset:9216
	s_waitcnt vmcnt(3)
	ds_write_b16 v205, v25 offset:13312
	ds_write_b16 v206, v35 offset:2048
	ds_write_b16 v206, v39 offset:6144
	ds_write_b16 v206, v22 offset:10240
	s_waitcnt vmcnt(2)
	ds_write_b16 v206, v26 offset:14336
	;; [unrolled: 5-line block ×3, first 2 shown]
	s_waitcnt lgkmcnt(0)
	s_barrier
.Ltmp8:
	.loc	1 64 21                         ; attention_bwd.py:64:21 @[ attention_bwd.py:200:26 ]
	s_and_b32 s29, s22, 0xffff
	s_mov_b32 s30, s46
	s_mov_b32 s31, s47
	.loc	1 51 20                         ; attention_bwd.py:51:20 @[ attention_bwd.py:200:26 ]
	buffer_load_dword v195, v4, s[44:47], 0 offen
	buffer_load_dword v193, v5, s[44:47], 0 offen
	;; [unrolled: 1-line block ×8, first 2 shown]
	.loc	1 64 21                         ; attention_bwd.py:64:21 @[ attention_bwd.py:200:26 ]
	buffer_load_dword v72, v4, s[28:31], 0 offen
	buffer_load_dword v70, v5, s[28:31], 0 offen
	;; [unrolled: 1-line block ×7, first 2 shown]
                                        ; kill: killed $vgpr4
                                        ; kill: killed $vgpr8
                                        ; kill: killed $vgpr5
                                        ; kill: killed $vgpr9
                                        ; kill: killed $vgpr6
                                        ; kill: killed $vgpr10
                                        ; kill: killed $vgpr7
	buffer_load_dword v79, v11, s[28:31], 0 offen
	.loc	1 51 20                         ; attention_bwd.py:51:20 @[ attention_bwd.py:200:26 ]
	buffer_load_dword v194, v12, s[44:47], 0 offen
	buffer_load_dword v173, v13, s[44:47], 0 offen
	;; [unrolled: 1-line block ×8, first 2 shown]
	.loc	1 64 21                         ; attention_bwd.py:64:21 @[ attention_bwd.py:200:26 ]
	buffer_load_dword v71, v12, s[28:31], 0 offen
	buffer_load_dword v69, v13, s[28:31], 0 offen
	;; [unrolled: 1-line block ×3, first 2 shown]
                                        ; kill: killed $vgpr12
                                        ; kill: killed $vgpr14
                                        ; kill: killed $sgpr46_sgpr47 killed $sgpr45
                                        ; kill: killed $vgpr13
                                        ; kill: killed $vgpr11
	buffer_load_dword v67, v15, s[28:31], 0 offen
	buffer_load_dword v180, v16, s[28:31], 0 offen
	;; [unrolled: 1-line block ×4, first 2 shown]
                                        ; kill: killed $vgpr17
                                        ; kill: killed $vgpr15
                                        ; kill: killed $vgpr16
                                        ; kill: killed $vgpr18
	buffer_load_dword v179, v19, s[28:31], 0 offen
	.loc	1 41 36                         ; attention_bwd.py:41:36 @[ attention_bwd.py:200:26 ]
	v_mul_lo_u32 v2, s24, v216
	.loc	1 41 18 is_stmt 0               ; attention_bwd.py:41:18 @[ attention_bwd.py:200:26 ]
	v_ashrrev_i32_e32 v3, 31, v2
	v_lshlrev_b64 v[234:235], 1, v[2:3]
	.loc	1 41 56                         ; attention_bwd.py:41:56 @[ attention_bwd.py:200:26 ]
	v_lshrrev_b32_e32 v2, 5, v182
	v_or_b32_e32 v5, 16, v2
	v_or_b32_e32 v7, 48, v2
	;; [unrolled: 1-line block ×4, first 2 shown]
	.loc	1 41 67                         ; attention_bwd.py:41:67 @[ attention_bwd.py:200:26 ]
	v_mul_lo_u32 v2, s25, v2
	s_mul_i32 s2, s25, 0x60
	.loc	1 41 49                         ; attention_bwd.py:41:49 @[ attention_bwd.py:200:26 ]
	v_ashrrev_i32_e32 v3, 31, v2
	.loc	1 41 67                         ; attention_bwd.py:41:67 @[ attention_bwd.py:200:26 ]
	v_lshl_add_u32 v4, s25, 5, v2
	v_lshl_add_u32 v6, s25, 6, v2
	v_add_u32_e32 v8, s2, v2
	.loc	1 41 49                         ; attention_bwd.py:41:49 @[ attention_bwd.py:200:26 ]
	v_lshlrev_b64 v[176:177], 1, v[2:3]
	.loc	1 41 67                         ; attention_bwd.py:41:67 @[ attention_bwd.py:200:26 ]
	v_mul_lo_u32 v2, s25, v5
	.loc	1 41 49                         ; attention_bwd.py:41:49 @[ attention_bwd.py:200:26 ]
	v_ashrrev_i32_e32 v3, 31, v2
.Ltmp9:
	.loc	1 172 16 is_stmt 1              ; attention_bwd.py:172:16
	ds_read2_b64 v[18:21], v224 offset1:16
.Ltmp10:
	.loc	1 41 49                         ; attention_bwd.py:41:49 @[ attention_bwd.py:200:26 ]
	v_lshlrev_b64 v[236:237], 1, v[2:3]
	.loc	1 41 67 is_stmt 0               ; attention_bwd.py:41:67 @[ attention_bwd.py:200:26 ]
	v_mul_lo_u32 v2, s25, v7
	.loc	1 41 49                         ; attention_bwd.py:41:49 @[ attention_bwd.py:200:26 ]
	v_ashrrev_i32_e32 v3, 31, v2
	v_lshlrev_b64 v[226:227], 1, v[2:3]
	.loc	1 41 67                         ; attention_bwd.py:41:67 @[ attention_bwd.py:200:26 ]
	v_mul_lo_u32 v2, s25, v9
	.loc	1 41 49                         ; attention_bwd.py:41:49 @[ attention_bwd.py:200:26 ]
	v_ashrrev_i32_e32 v3, 31, v2
	v_lshlrev_b64 v[240:241], 1, v[2:3]
	.loc	1 41 67                         ; attention_bwd.py:41:67 @[ attention_bwd.py:200:26 ]
	v_mul_lo_u32 v2, s25, v10
.Ltmp11:
	.loc	1 172 16 is_stmt 1              ; attention_bwd.py:172:16
	s_waitcnt lgkmcnt(0)
	buffer_store_dword v18, off, s[52:55], 0 offset:4 ; 4-byte Folded Spill
	s_nop 0
	buffer_store_dword v19, off, s[52:55], 0 offset:8 ; 4-byte Folded Spill
	buffer_store_dword v20, off, s[52:55], 0 offset:12 ; 4-byte Folded Spill
	;; [unrolled: 1-line block ×3, first 2 shown]
.Ltmp12:
	.loc	1 41 49                         ; attention_bwd.py:41:49 @[ attention_bwd.py:200:26 ]
	v_ashrrev_i32_e32 v3, 31, v2
.Ltmp13:
	.loc	1 172 16                        ; attention_bwd.py:172:16
	ds_read2_b64 v[146:149], v221 offset1:16
	ds_read2_b64 v[116:119], v222 offset1:16
	ds_read2_b64 v[120:123], v223 offset1:16
	ds_read2_b64 v[124:127], v217 offset1:16
	ds_read2_b64 v[152:155], v218 offset1:16
	ds_read2_b64 v[18:21], v219 offset1:16
.Ltmp14:
	.loc	1 41 49                         ; attention_bwd.py:41:49 @[ attention_bwd.py:200:26 ]
	v_ashrrev_i32_e32 v5, 31, v4
	v_ashrrev_i32_e32 v7, 31, v6
	;; [unrolled: 1-line block ×3, first 2 shown]
	v_lshlrev_b64 v[244:245], 1, v[2:3]
	.loc	1 42 37                         ; attention_bwd.py:42:37 @[ attention_bwd.py:200:26 ]
	v_mul_lo_u32 v2, s24, v0
	.loc	1 41 49                         ; attention_bwd.py:41:49 @[ attention_bwd.py:200:26 ]
	v_lshlrev_b64 v[246:247], 1, v[4:5]
	v_lshlrev_b64 v[238:239], 1, v[6:7]
	;; [unrolled: 1-line block ×3, first 2 shown]
	.loc	1 42 37                         ; attention_bwd.py:42:37 @[ attention_bwd.py:200:26 ]
	v_mad_u64_u32 v[8:9], s[2:3], s24, 12, v[2:3]
	v_mad_u64_u32 v[12:13], s[2:3], s24, 20, v[2:3]
	;; [unrolled: 1-line block ×4, first 2 shown]
	v_lshl_add_u32 v4, s24, 2, v2
	v_lshl_add_u32 v6, s24, 3, v2
	;; [unrolled: 1-line block ×3, first 2 shown]
.Ltmp15:
	.loc	1 165 36                        ; attention_bwd.py:165:36
	v_and_b32_e32 v112, 0x100, v182
.Ltmp16:
	.loc	1 42 19                         ; attention_bwd.py:42:19 @[ attention_bwd.py:200:26 ]
	v_ashrrev_i32_e32 v3, 31, v2
	v_ashrrev_i32_e32 v5, 31, v4
	;; [unrolled: 1-line block ×8, first 2 shown]
.Ltmp17:
	.loc	1 165 36                        ; attention_bwd.py:165:36
	v_cmp_eq_u32_e64 s[0:1], 0, v112
.Ltmp18:
	.loc	1 42 19                         ; attention_bwd.py:42:19 @[ attention_bwd.py:200:26 ]
	v_lshlrev_b64 v[2:3], 1, v[2:3]
	v_lshlrev_b64 v[4:5], 1, v[4:5]
	;; [unrolled: 1-line block ×8, first 2 shown]
	s_movk_i32 s2, 0x64
	.loc	1 47 25                         ; attention_bwd.py:47:25 @[ attention_bwd.py:200:26 ]
	s_cmp_lt_i32 s27, 64
.Ltmp19:
	.loc	1 171 58                        ; attention_bwd.py:171:58
	v_and_b32_e32 v113, 0xc0, v182
	v_bfe_i32 v228, v182, 7, 1
	v_bfe_i32 v175, v182, 2, 1
	v_lshlrev_b32_e32 v111, 6, v182
	v_lshlrev_b32_e32 v225, 2, v182
	v_lshrrev_b32_e32 v232, 5, v215
	.loc	1 172 16                        ; attention_bwd.py:172:16
	ds_read2_b64 v[74:77], v220 offset1:16
	v_lshlrev_b32_e32 v103, 1, v216
	v_lshlrev_b32_e32 v62, 3, v1
	v_lshrrev_b32_e32 v61, 2, v112
	v_lshlrev_b32_e32 v105, 5, v1
	s_waitcnt lgkmcnt(1)
	buffer_store_dword v18, off, s[52:55], 0 offset:36 ; 4-byte Folded Spill
	s_nop 0
	buffer_store_dword v19, off, s[52:55], 0 offset:40 ; 4-byte Folded Spill
	buffer_store_dword v20, off, s[52:55], 0 offset:44 ; 4-byte Folded Spill
	;; [unrolled: 1-line block ×3, first 2 shown]
.Ltmp20:
	.loc	1 47 25                         ; attention_bwd.py:47:25 @[ attention_bwd.py:200:26 ]
	buffer_store_dword v146, off, s[52:55], 0 offset:52 ; 4-byte Folded Spill
	s_nop 0
	buffer_store_dword v147, off, s[52:55], 0 offset:56 ; 4-byte Folded Spill
	buffer_store_dword v148, off, s[52:55], 0 offset:60 ; 4-byte Folded Spill
	;; [unrolled: 1-line block ×4, first 2 shown]
	s_nop 0
	buffer_store_dword v153, off, s[52:55], 0 offset:72 ; 4-byte Folded Spill
	buffer_store_dword v154, off, s[52:55], 0 offset:76 ; 4-byte Folded Spill
	;; [unrolled: 1-line block ×3, first 2 shown]
	s_waitcnt lgkmcnt(0)
	buffer_store_dword v74, off, s[52:55], 0 offset:20 ; 4-byte Folded Spill
	s_nop 0
	buffer_store_dword v75, off, s[52:55], 0 offset:24 ; 4-byte Folded Spill
	buffer_store_dword v76, off, s[52:55], 0 offset:28 ; 4-byte Folded Spill
	;; [unrolled: 1-line block ×3, first 2 shown]
	s_cbranch_scc1 .LBB0_12
; %bb.1:                                ; %.lr.ph
	v_add_u32_e32 v0, 0, v215
	buffer_store_dword v54, off, s[52:55], 0 offset:84 ; 4-byte Folded Spill
	s_nop 0
	buffer_store_dword v55, off, s[52:55], 0 offset:88 ; 4-byte Folded Spill
	buffer_store_dword v56, off, s[52:55], 0 offset:92 ; 4-byte Folded Spill
	;; [unrolled: 1-line block ×3, first 2 shown]
	v_and_b32_e32 v25, 2, v182
	v_lshl_add_u32 v55, v1, 4, v0
	v_lshrrev_b32_e32 v0, 1, v182
	buffer_store_dword v112, off, s[52:55], 0 offset:692 ; 4-byte Folded Spill
	buffer_store_dword v110, off, s[52:55], 0 offset:688 ; 4-byte Folded Spill
	;; [unrolled: 1-line block ×13, first 2 shown]
	s_nop 0
	buffer_store_dword v213, off, s[52:55], 0 offset:544 ; 4-byte Folded Spill
	buffer_store_dword v210, off, s[52:55], 0 offset:532 ; 4-byte Folded Spill
	s_nop 0
	buffer_store_dword v211, off, s[52:55], 0 offset:536 ; 4-byte Folded Spill
	buffer_store_dword v208, off, s[52:55], 0 offset:524 ; 4-byte Folded Spill
	;; [unrolled: 3-line block ×3, first 2 shown]
	buffer_store_dword v206, off, s[52:55], 0 offset:516 ; 4-byte Folded Spill
	buffer_store_dword v205, off, s[52:55], 0 offset:512 ; 4-byte Folded Spill
	buffer_store_dword v204, off, s[52:55], 0 offset:508 ; 4-byte Folded Spill
	buffer_store_dword v202, off, s[52:55], 0 offset:500 ; 4-byte Folded Spill
	s_nop 0
	buffer_store_dword v203, off, s[52:55], 0 offset:504 ; 4-byte Folded Spill
	buffer_store_dword v200, off, s[52:55], 0 offset:492 ; 4-byte Folded Spill
	s_nop 0
	buffer_store_dword v201, off, s[52:55], 0 offset:496 ; 4-byte Folded Spill
	buffer_store_dword v198, off, s[52:55], 0 offset:484 ; 4-byte Folded Spill
	s_nop 0
	buffer_store_dword v199, off, s[52:55], 0 offset:488 ; 4-byte Folded Spill
	buffer_store_dword v196, off, s[52:55], 0 offset:476 ; 4-byte Folded Spill
	s_nop 0
	buffer_store_dword v197, off, s[52:55], 0 offset:480 ; 4-byte Folded Spill
	buffer_store_dword v190, off, s[52:55], 0 offset:464 ; 4-byte Folded Spill
	s_nop 0
	buffer_store_dword v191, off, s[52:55], 0 offset:468 ; 4-byte Folded Spill
	buffer_store_dword v188, off, s[52:55], 0 offset:456 ; 4-byte Folded Spill
	s_nop 0
	buffer_store_dword v189, off, s[52:55], 0 offset:460 ; 4-byte Folded Spill
	buffer_store_dword v186, off, s[52:55], 0 offset:448 ; 4-byte Folded Spill
	s_nop 0
	buffer_store_dword v187, off, s[52:55], 0 offset:452 ; 4-byte Folded Spill
	buffer_store_dword v184, off, s[52:55], 0 offset:440 ; 4-byte Folded Spill
	s_nop 0
	buffer_store_dword v185, off, s[52:55], 0 offset:444 ; 4-byte Folded Spill
	buffer_store_dword v144, off, s[52:55], 0 offset:432 ; 4-byte Folded Spill
	s_nop 0
	buffer_store_dword v145, off, s[52:55], 0 offset:436 ; 4-byte Folded Spill
	buffer_store_dword v142, off, s[52:55], 0 offset:424 ; 4-byte Folded Spill
	s_nop 0
	buffer_store_dword v143, off, s[52:55], 0 offset:428 ; 4-byte Folded Spill
	buffer_store_dword v140, off, s[52:55], 0 offset:416 ; 4-byte Folded Spill
	s_nop 0
	buffer_store_dword v141, off, s[52:55], 0 offset:420 ; 4-byte Folded Spill
	buffer_store_dword v138, off, s[52:55], 0 offset:408 ; 4-byte Folded Spill
	s_nop 0
	buffer_store_dword v139, off, s[52:55], 0 offset:412 ; 4-byte Folded Spill
	buffer_store_dword v136, off, s[52:55], 0 offset:400 ; 4-byte Folded Spill
	s_nop 0
	buffer_store_dword v137, off, s[52:55], 0 offset:404 ; 4-byte Folded Spill
	v_lshlrev_b32_e32 v26, 11, v25
	v_and_b32_e32 v0, 16, v0
	v_and_or_b32 v26, v225, s2, v26
	v_mov_b32_e32 v1, s43
	v_add_co_u32_e64 v198, s[2:3], s42, v0
	v_addc_co_u32_e64 v1, s[2:3], 0, v1, s[2:3]
	v_mov_b32_e32 v57, s21
	v_add_co_u32_e64 v200, s[2:3], s20, v0
	v_addc_co_u32_e64 v199, s[2:3], 0, v57, s[2:3]
	v_add_co_u32_e64 v0, s[2:3], v16, v150
	v_addc_co_u32_e64 v16, s[2:3], v17, v151, s[2:3]
	v_mov_b32_e32 v17, s15
	v_add_co_u32_e64 v202, s[2:3], s14, v0
	v_addc_co_u32_e64 v201, s[2:3], v17, v16, s[2:3]
	;; [unrolled: 5-line block ×6, first 2 shown]
	v_add_co_u32_e64 v0, s[2:3], v6, v150
	v_addc_co_u32_e64 v6, s[2:3], v7, v151, s[2:3]
	v_and_b32_e32 v18, 30, v182
	v_mov_b32_e32 v7, s15
	v_add_co_u32_e64 v212, s[2:3], s14, v0
	v_lshlrev_b32_e32 v19, 2, v18
	v_and_b32_e32 v22, 0x80, v182
	v_and_b32_e32 v23, 0x108, v228
	v_mov_b32_e32 v24, 0x220
	v_addc_co_u32_e64 v211, s[2:3], v7, v6, s[2:3]
	v_cndmask_b32_e64 v24, v24, 0, s[0:1]
	v_xor_b32_e32 v19, v23, v19
	v_and_b32_e32 v28, 0x108, v175
	v_or_b32_e32 v29, v22, v232
	v_add_co_u32_e64 v0, s[2:3], v4, v150
	v_xor_b32_e32 v19, v19, v24
	v_and_b32_e32 v24, 0x600, v111
	v_or3_b32 v26, v28, v26, v29
	v_addc_co_u32_e64 v4, s[2:3], v5, v151, s[2:3]
	buffer_store_dword v214, off, s[52:55], 0 offset:548 ; 4-byte Folded Spill
	v_or3_b32 v24, v26, v24, v214
	v_mov_b32_e32 v5, s15
	v_add_co_u32_e64 v214, s[2:3], s14, v0
	v_addc_co_u32_e64 v213, s[2:3], v5, v4, s[2:3]
	v_add_co_u32_e64 v0, s[2:3], v150, v2
	v_addc_co_u32_e64 v2, s[2:3], v151, v3, s[2:3]
	v_mov_b32_e32 v3, s15
	v_add_co_u32_e64 v216, s[2:3], s14, v0
	buffer_store_dword v215, off, s[52:55], 0 offset:552 ; 4-byte Folded Spill
	v_lshl_or_b32 v19, v215, 6, v19
	v_addc_co_u32_e64 v215, s[2:3], v3, v2, s[2:3]
	v_add_co_u32_e64 v0, s[2:3], v244, v234
	buffer_store_dword v244, off, s[52:55], 0 offset:656 ; 4-byte Folded Spill
	s_nop 0
	buffer_store_dword v245, off, s[52:55], 0 offset:660 ; 4-byte Folded Spill
	v_mov_b32_e32 v3, s7
	buffer_store_dword v225, off, s[52:55], 0 offset:676 ; 4-byte Folded Spill
	buffer_store_dword v228, off, s[52:55], 0 offset:680 ; 4-byte Folded Spill
	;; [unrolled: 1-line block ×3, first 2 shown]
	v_and_b32_e32 v35, 56, v182
	v_mov_b32_e32 v36, 0x84
	v_and_b32_e32 v27, 4, v182
	v_cndmask_b32_e64 v36, v36, 0, s[0:1]
	v_lshl_or_b32 v25, v25, 1, v35
	v_and_b32_e32 v20, 1, v182
	v_lshlrev_b32_e32 v27, 4, v27
	v_lshlrev_b32_e32 v22, 5, v22
	v_xor_b32_e32 v25, v25, v36
	v_lshlrev_b32_e32 v21, 11, v20
	v_or3_b32 v22, v22, v27, v25
	v_or3_b32 v19, v19, v183, v21
	v_xor_b32_e32 v32, 0x60, v24
	buffer_store_dword v232, off, s[52:55], 0 offset:668 ; 4-byte Folded Spill
	v_or3_b32 v21, v22, v232, v21
	v_xor_b32_e32 v33, 0x68, v24
	v_xor_b32_e32 v22, 0x108, v21
	;; [unrolled: 1-line block ×8, first 2 shown]
	v_lshlrev_b32_e32 v18, 6, v18
	v_and_b32_e32 v39, 0x7c, v104
	v_lshlrev_b32_e32 v20, 12, v20
	v_or3_b32 v18, v18, v39, v20
	v_xor_b32_e32 v20, 4, v18
	v_xor_b32_e32 v39, 8, v18
	;; [unrolled: 1-line block ×19, first 2 shown]
	v_add_u32_e32 v34, 0, v62
	v_xor_b32_e32 v54, 60, v18
	v_xor_b32_e32 v31, 0x48, v24
	v_add_u32_e32 v73, v34, v103
	v_add3_u32 v34, v34, v62, v61
	v_add3_u32 v56, 0, v113, v105
	s_ashr_i32 s17, s16, 31
	s_max_i32 s29, s13, 2
	s_movk_i32 s27, 0x80
	s_lshl_b64 s[20:21], s[16:17], 1
	s_mov_b32 s7, 0x5040100
	v_add_u32_e32 v81, v55, v103
	v_add_u32_e32 v82, v34, v103
	;; [unrolled: 1-line block ×3, first 2 shown]
	s_mov_b32 s14, 0x7060302
	buffer_store_dword v183, off, s[52:55], 0 offset:472 ; 4-byte Folded Spill
	buffer_store_dword v111, off, s[52:55], 0 offset:672 ; 4-byte Folded Spill
	;; [unrolled: 1-line block ×9, first 2 shown]
	s_nop 0
	buffer_store_dword v125, off, s[52:55], 0 offset:248 ; 4-byte Folded Spill
	buffer_store_dword v126, off, s[52:55], 0 offset:252 ; 4-byte Folded Spill
	buffer_store_dword v127, off, s[52:55], 0 offset:256 ; 4-byte Folded Spill
	buffer_store_dword v120, off, s[52:55], 0 offset:228 ; 4-byte Folded Spill
	s_nop 0
	buffer_store_dword v121, off, s[52:55], 0 offset:232 ; 4-byte Folded Spill
	buffer_store_dword v122, off, s[52:55], 0 offset:236 ; 4-byte Folded Spill
	buffer_store_dword v123, off, s[52:55], 0 offset:240 ; 4-byte Folded Spill
	buffer_store_dword v116, off, s[52:55], 0 offset:212 ; 4-byte Folded Spill
	;; [unrolled: 5-line block ×8, first 2 shown]
	s_nop 0
	buffer_store_dword v253, off, s[52:55], 0 offset:120 ; 4-byte Folded Spill
	buffer_store_dword v254, off, s[52:55], 0 offset:124 ; 4-byte Folded Spill
	;; [unrolled: 1-line block ×3, first 2 shown]
	v_addc_co_u32_e64 v2, s[2:3], v245, v235, s[2:3]
	v_add_co_u32_e64 v218, s[2:3], s6, v0
	v_addc_co_u32_e64 v217, s[2:3], v3, v2, s[2:3]
	v_add_co_u32_e64 v0, s[2:3], v242, v234
	buffer_store_dword v242, off, s[52:55], 0 offset:648 ; 4-byte Folded Spill
	s_nop 0
	buffer_store_dword v243, off, s[52:55], 0 offset:652 ; 4-byte Folded Spill
	v_addc_co_u32_e64 v2, s[2:3], v243, v235, s[2:3]
	v_add_co_u32_e64 v220, s[2:3], s6, v0
	v_addc_co_u32_e64 v219, s[2:3], v3, v2, s[2:3]
	v_add_co_u32_e64 v0, s[2:3], v240, v234
	buffer_store_dword v240, off, s[52:55], 0 offset:640 ; 4-byte Folded Spill
	s_nop 0
	buffer_store_dword v241, off, s[52:55], 0 offset:644 ; 4-byte Folded Spill
	;; [unrolled: 7-line block ×7, first 2 shown]
	buffer_store_dword v176, off, s[52:55], 0 offset:596 ; 4-byte Folded Spill
	s_nop 0
	buffer_store_dword v177, off, s[52:55], 0 offset:600 ; 4-byte Folded Spill
	v_addc_co_u32_e64 v2, s[2:3], v235, v177, s[2:3]
	buffer_load_dword v174, off, s[52:55], 0 offset:4 ; 4-byte Folded Reload
	buffer_load_dword v175, off, s[52:55], 0 offset:8 ; 4-byte Folded Reload
	buffer_load_dword v176, off, s[52:55], 0 offset:12 ; 4-byte Folded Reload
	buffer_load_dword v177, off, s[52:55], 0 offset:16 ; 4-byte Folded Reload
	v_add_co_u32_e64 v232, s[2:3], s6, v0
	v_addc_co_u32_e64 v231, s[2:3], v3, v2, s[2:3]
	v_add_u32_e32 v3, 0, v32
	buffer_store_dword v3, off, s[52:55], 0 offset:384 ; 4-byte Folded Spill
	buffer_store_dword v128, off, s[52:55], 0 offset:100 ; 4-byte Folded Spill
	s_nop 0
	buffer_store_dword v129, off, s[52:55], 0 offset:104 ; 4-byte Folded Spill
	buffer_store_dword v130, off, s[52:55], 0 offset:108 ; 4-byte Folded Spill
	;; [unrolled: 1-line block ×3, first 2 shown]
	v_add_u32_e32 v3, 0, v33
	buffer_store_dword v3, off, s[52:55], 0 offset:388 ; 4-byte Folded Spill
	v_add_u32_e32 v3, 0, v21
	buffer_store_dword v3, off, s[52:55], 0 offset:284 ; 4-byte Folded Spill
	;; [unrolled: 2-line block ×17, first 2 shown]
	v_add_u32_e32 v3, 0, v45
	v_add_u32_e32 v0, 0, v19
	buffer_store_dword v3, off, s[52:55], 0 offset:348 ; 4-byte Folded Spill
	v_add_u32_e32 v3, 0, v46
	buffer_store_dword v0, off, s[52:55], 0 offset:264 ; 4-byte Folded Spill
	v_add_u32_e32 v0, 0, v23
	buffer_store_dword v3, off, s[52:55], 0 offset:352 ; 4-byte Folded Spill
	v_add_u32_e32 v3, 0, v47
	buffer_store_dword v0, off, s[52:55], 0 offset:276 ; 4-byte Folded Spill
	v_add_u32_e32 v0, 0, v24
	buffer_store_dword v3, off, s[52:55], 0 offset:356 ; 4-byte Folded Spill
	v_add_u32_e32 v3, 0, v48
	buffer_store_dword v0, off, s[52:55], 0 offset:272 ; 4-byte Folded Spill
	v_add_u32_e32 v0, 0, v26
	buffer_store_dword v3, off, s[52:55], 0 offset:360 ; 4-byte Folded Spill
	v_add_u32_e32 v3, 0, v49
	buffer_store_dword v0, off, s[52:55], 0 offset:260 ; 4-byte Folded Spill
	v_add_u32_e32 v0, 0, v28
	buffer_store_dword v3, off, s[52:55], 0 offset:364 ; 4-byte Folded Spill
	v_add_u32_e32 v3, 0, v50
	buffer_store_dword v0, off, s[52:55], 0 offset:268 ; 4-byte Folded Spill
	v_add_u32_e32 v0, 0, v29
	buffer_store_dword v3, off, s[52:55], 0 offset:368 ; 4-byte Folded Spill
	v_add_u32_e32 v3, 0, v51
	v_mov_b32_e32 v2, 0
	buffer_store_dword v0, off, s[52:55], 0 offset:280 ; 4-byte Folded Spill
	v_add_u32_e32 v0, 0, v30
	buffer_store_dword v3, off, s[52:55], 0 offset:372 ; 4-byte Folded Spill
	v_add_u32_e32 v3, 0, v54
	s_add_i32 s6, s29, -1
	buffer_store_dword v0, off, s[52:55], 0 offset:380 ; 4-byte Folded Spill
	v_add_u32_e32 v0, 0, v31
	buffer_store_dword v3, off, s[52:55], 0 offset:376 ; 4-byte Folded Spill
	v_mov_b32_e32 v3, v2
	v_mov_b32_e32 v4, v2
	;; [unrolled: 1-line block ×31, first 2 shown]
.LBB0_2:                                ; =>This Inner Loop Header: Depth=1
	.loc	1 71 18                         ; attention_bwd.py:71:18 @[ attention_bwd.py:200:26 ]
	v_add_co_u32_e64 v234, s[2:3], s4, v202
	v_mov_b32_e32 v34, s5
	v_addc_co_u32_e64 v235, s[2:3], v201, v34, s[2:3]
	v_add_co_u32_e64 v236, s[2:3], s4, v204
	v_addc_co_u32_e64 v237, s[2:3], v203, v34, s[2:3]
	v_add_co_u32_e64 v238, s[2:3], s4, v206
	;; [unrolled: 2-line block ×15, first 2 shown]
	v_addc_co_u32_e64 v191, s[2:3], v231, v34, s[2:3]
	.loc	1 48 21                         ; attention_bwd.py:48:21 @[ attention_bwd.py:200:26 ]
	global_load_ushort v36, v[190:191], off
	global_load_ushort v37, v[188:189], off
	;; [unrolled: 1-line block ×8, first 2 shown]
	.loc	1 69 35                         ; attention_bwd.py:69:35 @[ attention_bwd.py:200:26 ]
	s_waitcnt lgkmcnt(0)
	s_barrier
	buffer_load_dword v44, off, s[52:55], 0 offset:264 ; 4-byte Folded Reload
	.loc	1 51 24                         ; attention_bwd.py:51:24 @[ attention_bwd.py:200:26 ]
	v_mov_b32_e32 v100, s19
	.loc	1 48 21                         ; attention_bwd.py:48:21 @[ attention_bwd.py:200:26 ]
	v_add_u32_e32 v101, 0, v104
	v_mov_b32_e32 v110, v104
	.loc	1 47 25                         ; attention_bwd.py:47:25 @[ attention_bwd.py:200:26 ]
	s_add_i32 s6, s6, -1
	s_cmp_lg_u32 s6, 0
	.loc	1 69 35                         ; attention_bwd.py:69:35 @[ attention_bwd.py:200:26 ]
	s_waitcnt vmcnt(6)
	v_perm_b32 v34, v38, v36, s7
	s_waitcnt vmcnt(2)
	v_perm_b32 v35, v42, v40, s7
	s_waitcnt vmcnt(0)
	ds_write2_b32 v44, v34, v35 offset1:32
	buffer_load_dword v44, off, s[52:55], 0 offset:276 ; 4-byte Folded Reload
	v_perm_b32 v34, v39, v37, s7
	v_perm_b32 v35, v43, v41, s7
	s_waitcnt vmcnt(0)
	ds_write2_b32 v44, v34, v35 offset1:32
	s_waitcnt lgkmcnt(0)
	s_barrier
	buffer_load_dword v34, off, s[52:55], 0 offset:272 ; 4-byte Folded Reload
	s_waitcnt vmcnt(0)
	ds_read_u16 v35, v34
	ds_read_u16 v85, v34 offset:2048
	buffer_load_dword v34, off, s[52:55], 0 offset:260 ; 4-byte Folded Reload
	s_waitcnt vmcnt(0)
	ds_read_u16 v87, v34
	ds_read_u16 v89, v34 offset:2048
	;; [unrolled: 4-line block ×5, first 2 shown]
	ds_read_u16 v95, v0
	ds_read_u16 v97, v0 offset:2048
	buffer_load_dword v34, off, s[52:55], 0 offset:384 ; 4-byte Folded Reload
	s_waitcnt vmcnt(0)
	ds_read_u16 v94, v34
	ds_read_u16 v96, v34 offset:2048
	buffer_load_dword v34, off, s[52:55], 0 offset:388 ; 4-byte Folded Reload
	s_waitcnt vmcnt(0)
	ds_read_u16 v50, v34
	ds_read_u16 v51, v34 offset:2048
	.loc	1 51 24                         ; attention_bwd.py:51:24 @[ attention_bwd.py:200:26 ]
	v_add_co_u32_e64 v34, s[2:3], s18, v198
	.loc	1 69 35                         ; attention_bwd.py:69:35 @[ attention_bwd.py:200:26 ]
	s_waitcnt lgkmcnt(14)
	buffer_store_dword v35, off, s[52:55], 0 ; 4-byte Folded Spill
	.loc	1 51 24                         ; attention_bwd.py:51:24 @[ attention_bwd.py:200:26 ]
	v_addc_co_u32_e64 v35, s[2:3], v1, v100, s[2:3]
	.loc	1 51 20 is_stmt 0               ; attention_bwd.py:51:20 @[ attention_bwd.py:200:26 ]
	global_load_dwordx4 v[114:117], v[34:35], off offset:128
	global_load_dwordx4 v[118:121], v[34:35], off offset:160
	;; [unrolled: 1-line block ×4, first 2 shown]
	.loc	1 48 21 is_stmt 1               ; attention_bwd.py:48:21 @[ attention_bwd.py:200:26 ]
	s_waitcnt lgkmcnt(0)
	s_barrier
	ds_write_b16 v101, v36
	ds_write_b16 v101, v37 offset:1024
	ds_write_b16 v101, v38 offset:2048
	;; [unrolled: 1-line block ×7, first 2 shown]
	s_waitcnt lgkmcnt(0)
	s_barrier
	ds_read_u16 v34, v73
	ds_read_u16 v35, v73 offset:64
	ds_read_u16 v36, v73 offset:128
	;; [unrolled: 1-line block ×63, first 2 shown]
	.loc	1 52 24                         ; attention_bwd.py:52:24 @[ attention_bwd.py:200:26 ]
	s_waitcnt lgkmcnt(14)
	v_perm_b32 v63, v65, v63, s7
	v_perm_b32 v62, v64, v62, s7
	;; [unrolled: 1-line block ×5, first 2 shown]
	buffer_load_dword v102, off, s[52:55], 0 offset:116 ; 4-byte Folded Reload
	buffer_load_dword v103, off, s[52:55], 0 offset:120 ; 4-byte Folded Reload
	;; [unrolled: 1-line block ×4, first 2 shown]
	v_perm_b32 v99, v107, v106, s7
	v_perm_b32 v131, v131, v130, s7
	v_perm_b32 v130, v109, v108, s7
	buffer_load_dword v106, off, s[52:55], 0 offset:132 ; 4-byte Folded Reload
	buffer_load_dword v107, off, s[52:55], 0 offset:136 ; 4-byte Folded Reload
	;; [unrolled: 1-line block ×4, first 2 shown]
	v_perm_b32 v55, v37, v36, s7
	v_perm_b32 v54, v35, v34, s7
	;; [unrolled: 1-line block ×12, first 2 shown]
	s_waitcnt lgkmcnt(12)
	v_perm_b32 v141, v153, v152, s7
	s_waitcnt lgkmcnt(10)
	v_perm_b32 v142, v155, v154, s7
	s_waitcnt vmcnt(6)
	v_mfma_f32_32x32x8f16 v[34:49], v[54:55], v[102:103], 0
	buffer_load_dword v152, off, s[52:55], 0 offset:148 ; 4-byte Folded Reload
	buffer_load_dword v153, off, s[52:55], 0 offset:152 ; 4-byte Folded Reload
	;; [unrolled: 1-line block ×4, first 2 shown]
	v_perm_b32 v133, v135, v133, s7
	v_perm_b32 v135, v139, v138, s7
	v_perm_b32 v138, v145, v144, s7
	s_waitcnt lgkmcnt(8)
	v_perm_b32 v143, v157, v156, s7
	s_waitcnt lgkmcnt(6)
	v_perm_b32 v144, v159, v158, s7
	buffer_load_dword v156, off, s[52:55], 0 offset:164 ; 4-byte Folded Reload
	buffer_load_dword v157, off, s[52:55], 0 offset:168 ; 4-byte Folded Reload
	buffer_load_dword v158, off, s[52:55], 0 offset:172 ; 4-byte Folded Reload
	buffer_load_dword v159, off, s[52:55], 0 offset:176 ; 4-byte Folded Reload
	v_perm_b32 v139, v147, v146, s7
	s_waitcnt lgkmcnt(4)
	v_perm_b32 v145, v161, v160, s7
	s_waitcnt lgkmcnt(2)
	v_perm_b32 v146, v163, v162, s7
	buffer_load_dword v160, off, s[52:55], 0 offset:196 ; 4-byte Folded Reload
	buffer_load_dword v161, off, s[52:55], 0 offset:200 ; 4-byte Folded Reload
	;; [unrolled: 1-line block ×4, first 2 shown]
	v_perm_b32 v140, v149, v148, s7
	s_waitcnt lgkmcnt(0)
	v_perm_b32 v147, v197, v196, s7
	s_waitcnt vmcnt(14)
	v_mfma_f32_32x32x8f16 v[34:49], v[56:57], v[106:107], v[34:49]
	buffer_load_dword v54, off, s[52:55], 0 offset:84 ; 4-byte Folded Reload
	buffer_load_dword v55, off, s[52:55], 0 offset:88 ; 4-byte Folded Reload
	buffer_load_dword v56, off, s[52:55], 0 offset:92 ; 4-byte Folded Reload
	buffer_load_dword v57, off, s[52:55], 0 offset:96 ; 4-byte Folded Reload
	s_waitcnt vmcnt(2)
	v_mfma_f32_32x32x8f16 v[34:49], v[58:59], v[54:55], v[34:49]
	v_mfma_f32_32x32x8f16 v[34:49], v[60:61], v[152:153], v[34:49]
	;; [unrolled: 1-line block ×3, first 2 shown]
	buffer_load_dword v60, off, s[52:55], 0 offset:180 ; 4-byte Folded Reload
	buffer_load_dword v61, off, s[52:55], 0 offset:184 ; 4-byte Folded Reload
	;; [unrolled: 1-line block ×4, first 2 shown]
	s_waitcnt vmcnt(2)
	v_mfma_f32_32x32x8f16 v[34:49], v[64:65], v[60:61], v[34:49]
	buffer_load_dword v58, off, s[52:55], 0 offset:100 ; 4-byte Folded Reload
	buffer_load_dword v59, off, s[52:55], 0 offset:104 ; 4-byte Folded Reload
	;; [unrolled: 1-line block ×4, first 2 shown]
	v_mfma_f32_32x32x8f16 v[34:49], v[98:99], v[160:161], v[34:49]
	s_waitcnt vmcnt(2)
	v_mfma_f32_32x32x8f16 v[34:49], v[130:131], v[58:59], v[34:49]
	v_mfma_f32_32x32x8f16 v[34:49], v[132:133], v[104:105], v[34:49]
	;; [unrolled: 1-line block ×8, first 2 shown]
	s_waitcnt vmcnt(0)
	v_mfma_f32_32x32x8f16 v[34:49], v[146:147], v[60:61], v[34:49]
	.loc	1 58 21                         ; attention_bwd.py:58:21 @[ attention_bwd.py:200:26 ]
	global_load_ushort v146, v[248:249], off
	global_load_ushort v147, v[246:247], off
	;; [unrolled: 1-line block ×8, first 2 shown]
	.loc	1 66 33                         ; attention_bwd.py:66:33 @[ attention_bwd.py:200:26 ]
	s_waitcnt lgkmcnt(0)
	s_barrier
	.loc	1 53 32                         ; attention_bwd.py:53:32 @[ attention_bwd.py:200:26 ]
	s_nop 8
	v_sub_f32_e32 v34, v34, v195
	v_sub_f32_e32 v49, v49, v52
	.loc	1 53 26 is_stmt 0               ; attention_bwd.py:53:26 @[ attention_bwd.py:200:26 ]
	v_exp_f32_e32 v52, v34
	.loc	1 66 33 is_stmt 1               ; attention_bwd.py:66:33 @[ attention_bwd.py:200:26 ]
	buffer_load_dword v34, off, s[52:55], 0 offset:284 ; 4-byte Folded Reload
	.loc	1 53 32                         ; attention_bwd.py:53:32 @[ attention_bwd.py:200:26 ]
	v_sub_f32_e32 v39, v39, v167
	v_sub_f32_e32 v40, v40, v166
	;; [unrolled: 1-line block ×11, first 2 shown]
	.loc	1 53 26 is_stmt 0               ; attention_bwd.py:53:26 @[ attention_bwd.py:200:26 ]
	v_exp_f32_e32 v54, v36
	v_exp_f32_e32 v56, v38
	;; [unrolled: 1-line block ×7, first 2 shown]
	.loc	1 53 32                         ; attention_bwd.py:53:32 @[ attention_bwd.py:200:26 ]
	v_sub_f32_e32 v35, v35, v193
	v_sub_f32_e32 v41, v41, v53
	.loc	1 53 26                         ; attention_bwd.py:53:26 @[ attention_bwd.py:200:26 ]
	v_exp_f32_e32 v53, v35
	.loc	1 53 32                         ; attention_bwd.py:53:32 @[ attention_bwd.py:200:26 ]
	v_sub_f32_e32 v47, v47, v165
	.loc	1 53 26                         ; attention_bwd.py:53:26 @[ attention_bwd.py:200:26 ]
	v_exp_f32_e32 v55, v37
	v_exp_f32_e32 v57, v39
	;; [unrolled: 1-line block ×7, first 2 shown]
	.loc	1 61 21 is_stmt 1               ; attention_bwd.py:61:21 @[ attention_bwd.py:200:26 ]
	v_cvt_f16_f32_e32 v130, v52
	v_cvt_f16_f32_e32 v131, v53
	;; [unrolled: 1-line block ×16, first 2 shown]
	.loc	1 66 33                         ; attention_bwd.py:66:33 @[ attention_bwd.py:200:26 ]
	s_waitcnt vmcnt(0)
	ds_write_b16 v34, v146
	buffer_load_dword v34, off, s[52:55], 0 offset:288 ; 4-byte Folded Reload
	s_waitcnt vmcnt(0)
	ds_write_b16 v34, v147
	buffer_load_dword v34, off, s[52:55], 0 offset:292 ; 4-byte Folded Reload
	;; [unrolled: 3-line block ×7, first 2 shown]
	s_waitcnt vmcnt(0)
	ds_write_b16 v34, v155
	s_waitcnt lgkmcnt(0)
	s_barrier
	buffer_load_dword v74, off, s[52:55], 0 offset:348 ; 4-byte Folded Reload
	buffer_load_dword v34, off, s[52:55], 0 offset:316 ; 4-byte Folded Reload
	;; [unrolled: 1-line block ×9, first 2 shown]
	s_waitcnt vmcnt(8)
	ds_read2st64_b32 v[166:167], v74 offset1:8
	buffer_load_dword v74, off, s[52:55], 0 offset:352 ; 4-byte Folded Reload
	s_waitcnt vmcnt(8)
	ds_read2st64_b32 v[34:35], v34 offset1:8
	s_waitcnt vmcnt(7)
	ds_read2st64_b32 v[36:37], v36 offset1:8
	;; [unrolled: 2-line block ×8, first 2 shown]
	.loc	1 66 24 is_stmt 0               ; attention_bwd.py:66:24 @[ attention_bwd.py:200:26 ]
	s_waitcnt lgkmcnt(7)
	v_perm_b32 v192, v35, v34, s7
	s_waitcnt lgkmcnt(6)
	v_perm_b32 v193, v37, v36, s7
	;; [unrolled: 2-line block ×6, first 2 shown]
	v_perm_b32 v163, v45, v44, s14
	s_waitcnt lgkmcnt(1)
	v_perm_b32 v164, v47, v46, s14
	s_waitcnt lgkmcnt(0)
	v_perm_b32 v165, v49, v48, s14
	.loc	1 66 33                         ; attention_bwd.py:66:33 @[ attention_bwd.py:200:26 ]
	s_waitcnt vmcnt(0)
	ds_read2st64_b32 v[168:169], v74 offset1:8
	buffer_load_dword v74, off, s[52:55], 0 offset:356 ; 4-byte Folded Reload
	s_waitcnt vmcnt(0)
	ds_read2st64_b32 v[170:171], v74 offset1:8
	buffer_load_dword v74, off, s[52:55], 0 offset:360 ; 4-byte Folded Reload
	;; [unrolled: 3-line block ×6, first 2 shown]
	s_waitcnt vmcnt(0)
	ds_read2st64_b32 v[108:109], v74 offset1:8
	.loc	1 61 21 is_stmt 1               ; attention_bwd.py:61:21 @[ attention_bwd.py:200:26 ]
	s_waitcnt lgkmcnt(0)
	s_barrier
	ds_write_b16 v81, v130
	ds_write_b16 v81, v131 offset:128
	ds_write_b16 v81, v132 offset:256
	;; [unrolled: 1-line block ×15, first 2 shown]
	s_waitcnt lgkmcnt(0)
	s_barrier
	ds_read_u16 v130, v82
	ds_read_u16 v132, v82 offset:128
	ds_read_u16 v131, v82 offset:256
	;; [unrolled: 1-line block ×15, first 2 shown]
	.loc	1 58 21                         ; attention_bwd.py:58:21 @[ attention_bwd.py:200:26 ]
	s_waitcnt lgkmcnt(0)
	s_barrier
	ds_write_b16 v101, v146
	ds_write_b16 v101, v147 offset:1024
	ds_write_b16 v101, v148 offset:2048
	;; [unrolled: 1-line block ×7, first 2 shown]
	s_waitcnt lgkmcnt(0)
	s_barrier
	ds_read_u16 v101, v83
	ds_read_u16 v146, v83 offset:256
	ds_read_u16 v147, v83 offset:512
	;; [unrolled: 1-line block ×15, first 2 shown]
	.loc	1 62 26                         ; attention_bwd.py:62:26 @[ attention_bwd.py:200:26 ]
	v_perm_b32 v131, v133, v131, s7
	v_perm_b32 v130, v132, v130, s7
	;; [unrolled: 1-line block ×7, first 2 shown]
	s_waitcnt lgkmcnt(12)
	v_perm_b32 v139, v148, v147, s7
	s_waitcnt lgkmcnt(8)
	v_perm_b32 v141, v154, v153, s7
	v_perm_b32 v140, v152, v149, s7
	s_waitcnt lgkmcnt(4)
	v_perm_b32 v143, v158, v157, s7
	v_perm_b32 v142, v156, v155, s7
	.loc	1 66 24                         ; attention_bwd.py:66:24 @[ attention_bwd.py:200:26 ]
	v_perm_b32 v148, v167, v166, s7
	v_perm_b32 v149, v169, v168, s7
	;; [unrolled: 1-line block ×10, first 2 shown]
	buffer_load_dword v106, off, s[52:55], 0 offset:52 ; 4-byte Folded Reload
	buffer_load_dword v107, off, s[52:55], 0 offset:56 ; 4-byte Folded Reload
	;; [unrolled: 1-line block ×4, first 2 shown]
	.loc	1 62 26                         ; attention_bwd.py:62:26 @[ attention_bwd.py:200:26 ]
	v_perm_b32 v137, v145, v144, s7
	v_perm_b32 v138, v146, v101, s7
	s_waitcnt lgkmcnt(0)
	v_perm_b32 v145, v162, v161, s7
	v_perm_b32 v144, v160, v159, s7
	.loc	1 66 24                         ; attention_bwd.py:66:24 @[ attention_bwd.py:200:26 ]
	v_perm_b32 v146, v47, v46, s7
	v_perm_b32 v147, v49, v48, s7
	;; [unrolled: 1-line block ×7, first 2 shown]
	v_mfma_f32_32x32x8f16 v[34:49], v[192:193], v[174:175], 0
	v_perm_b32 v152, v171, v170, s7
	v_perm_b32 v155, v105, v104, s7
	;; [unrolled: 1-line block ×4, first 2 shown]
	v_mov_b32_e32 v104, v110
	buffer_load_dword v110, off, s[52:55], 0 offset:228 ; 4-byte Folded Reload
	buffer_load_dword v111, off, s[52:55], 0 offset:232 ; 4-byte Folded Reload
	;; [unrolled: 1-line block ×8, first 2 shown]
	v_perm_b32 v154, v103, v102, s7
	v_perm_b32 v170, v103, v102, s14
	s_waitcnt vmcnt(10)
	v_mfma_f32_32x32x8f16 v[34:49], v[194:195], v[106:107], v[34:49]
	buffer_load_dword v192, off, s[52:55], 0 offset:212 ; 4-byte Folded Reload
	buffer_load_dword v193, off, s[52:55], 0 offset:216 ; 4-byte Folded Reload
	;; [unrolled: 1-line block ×4, first 2 shown]
	s_waitcnt vmcnt(2)
	v_mfma_f32_32x32x8f16 v[34:49], v[196:197], v[192:193], v[34:49]
	v_mov_b32_e32 v192, v116
	v_mov_b32_e32 v193, v115
	.loc	1 62 26                         ; attention_bwd.py:62:26 @[ attention_bwd.py:200:26 ]
	v_mfma_f32_32x32x8f16 v[2:17], v[138:139], v[130:131], v[2:17]
	.loc	1 66 24                         ; attention_bwd.py:66:24 @[ attention_bwd.py:200:26 ]
	v_mfma_f32_32x32x8f16 v[34:49], v[146:147], v[110:111], v[34:49]
	;; [unrolled: 2-line block ×4, first 2 shown]
	buffer_load_dword v146, off, s[52:55], 0 offset:68 ; 4-byte Folded Reload
	buffer_load_dword v147, off, s[52:55], 0 offset:72 ; 4-byte Folded Reload
	;; [unrolled: 1-line block ×4, first 2 shown]
	.loc	1 62 26                         ; attention_bwd.py:62:26 @[ attention_bwd.py:200:26 ]
	v_mfma_f32_32x32x8f16 v[2:17], v[142:143], v[134:135], v[2:17]
	.loc	1 64 25                         ; attention_bwd.py:64:25 @[ attention_bwd.py:200:26 ]
	v_add_co_u32_e64 v142, s[2:3], s18, v200
	v_addc_co_u32_e64 v143, s[2:3], v199, v100, s[2:3]
	buffer_load_dword v100, off, s[52:55], 0 offset:36 ; 4-byte Folded Reload
	buffer_load_dword v101, off, s[52:55], 0 offset:40 ; 4-byte Folded Reload
	;; [unrolled: 1-line block ×4, first 2 shown]
	.loc	1 47 25                         ; attention_bwd.py:47:25 @[ attention_bwd.py:200:26 ]
	v_add_co_u32_e64 v198, s[2:3], s27, v198
	v_addc_co_u32_e64 v1, s[2:3], 0, v1, s[2:3]
	v_add_co_u32_e64 v200, s[2:3], s27, v200
	v_addc_co_u32_e64 v199, s[2:3], 0, v199, s[2:3]
	v_add_co_u32_e64 v202, s[2:3], s20, v202
	.loc	1 66 24                         ; attention_bwd.py:66:24 @[ attention_bwd.py:200:26 ]
	s_waitcnt vmcnt(6)
	v_mfma_f32_32x32x8f16 v[34:49], v[152:153], v[146:147], v[34:49]
	s_waitcnt vmcnt(2)
	v_mfma_f32_32x32x8f16 v[34:49], v[154:155], v[100:101], v[34:49]
	buffer_load_dword v152, off, s[52:55], 0 offset:20 ; 4-byte Folded Reload
	buffer_load_dword v153, off, s[52:55], 0 offset:24 ; 4-byte Folded Reload
	;; [unrolled: 1-line block ×4, first 2 shown]
	s_waitcnt vmcnt(2)
	v_mfma_f32_32x32x8f16 v[34:49], v[156:157], v[152:153], v[34:49]
	v_mfma_f32_32x32x8f16 v[34:49], v[158:159], v[176:177], v[34:49]
	;; [unrolled: 1-line block ×4, first 2 shown]
	v_mov_b32_e32 v194, v122
	v_mov_b32_e32 v195, v114
	v_mfma_f32_32x32x8f16 v[34:49], v[164:165], v[112:113], v[34:49]
	v_mov_b32_e32 v164, v128
	v_mov_b32_e32 v165, v127
	v_mfma_f32_32x32x8f16 v[34:49], v[166:167], v[76:77], v[34:49]
	;; [unrolled: 3-line block ×4, first 2 shown]
	v_mov_b32_e32 v170, v118
	v_mov_b32_e32 v171, v117
	s_waitcnt vmcnt(0)
	v_mfma_f32_32x32x8f16 v[34:49], v[172:173], v[154:155], v[34:49]
	v_mov_b32_e32 v172, v124
	v_mov_b32_e32 v173, v123
	.loc	1 62 26                         ; attention_bwd.py:62:26 @[ attention_bwd.py:200:26 ]
	v_mfma_f32_32x32x8f16 v[2:17], v[144:145], v[136:137], v[2:17]
	.loc	1 67 26                         ; attention_bwd.py:67:26 @[ attention_bwd.py:200:26 ]
	s_nop 15
	v_sub_f32_e32 v34, v34, v72
	v_sub_f32_e32 v35, v35, v70
	;; [unrolled: 1-line block ×16, first 2 shown]
	.loc	1 68 21                         ; attention_bwd.py:68:21 @[ attention_bwd.py:200:26 ]
	v_fma_mixlo_f16 v34, v52, v34, 0
	v_fma_mixlo_f16 v35, v53, v35, 0
	;; [unrolled: 1-line block ×14, first 2 shown]
	.loc	1 64 21                         ; attention_bwd.py:64:21 @[ attention_bwd.py:200:26 ]
	global_load_dwordx4 v[130:133], v[142:143], off offset:128
	global_load_dwordx4 v[134:137], v[142:143], off offset:160
	;; [unrolled: 1-line block ×3, first 2 shown]
	s_nop 0
	global_load_dwordx4 v[142:145], v[142:143], off offset:224
	.loc	1 68 21                         ; attention_bwd.py:68:21 @[ attention_bwd.py:200:26 ]
	v_fma_mixlo_f16 v40, v58, v40, 0
	v_fma_mixlo_f16 v41, v59, v41, 0
	s_waitcnt lgkmcnt(0)
	s_barrier
	ds_write_b16 v81, v34
	ds_write_b16 v81, v35 offset:128
	ds_write_b16 v81, v36 offset:256
	;; [unrolled: 1-line block ×15, first 2 shown]
	s_waitcnt lgkmcnt(0)
	s_barrier
	ds_read_u16 v34, v82
	ds_read_u16 v35, v82 offset:128
	ds_read_u16 v36, v82 offset:256
	;; [unrolled: 1-line block ×15, first 2 shown]
	.loc	1 69 26                         ; attention_bwd.py:69:26 @[ attention_bwd.py:200:26 ]
	s_waitcnt lgkmcnt(10)
	v_perm_b32 v38, v42, v38, s7
	buffer_load_dword v42, off, s[52:55], 0 ; 4-byte Folded Reload
	v_perm_b32 v41, v37, v36, s7
	s_waitcnt lgkmcnt(6)
	v_perm_b32 v36, v45, v44, s7
	v_perm_b32 v45, v89, v87, s7
	v_perm_b32 v40, v35, v34, s7
	s_waitcnt lgkmcnt(4)
	v_perm_b32 v37, v47, v46, s7
	v_perm_b32 v47, v93, v91, s7
	v_perm_b32 v46, v88, v86, s7
	v_perm_b32 v39, v43, v39, s7
	s_waitcnt lgkmcnt(2)
	v_perm_b32 v34, v49, v48, s7
	;; [unrolled: 5-line block ×3, first 2 shown]
	v_mov_b32_e32 v52, v129
	v_mov_b32_e32 v53, v121
	s_waitcnt vmcnt(4)
	v_mov_b32_e32 v181, v133
	s_waitcnt vmcnt(3)
	v_mov_b32_e32 v79, v137
	s_waitcnt vmcnt(2)
	v_mov_b32_e32 v67, v141
	s_waitcnt vmcnt(1)
	v_mov_b32_e32 v179, v145
	v_mov_b32_e32 v78, v144
	;; [unrolled: 1-line block ×10, first 2 shown]
	s_waitcnt vmcnt(0)
	v_perm_b32 v44, v85, v42, s7
	v_perm_b32 v42, v96, v94, s7
	v_mov_b32_e32 v68, v132
	v_mfma_f32_32x32x8f16 v[18:33], v[44:45], v[40:41], v[18:33]
	v_mov_b32_e32 v70, v131
	v_mov_b32_e32 v72, v130
	v_mfma_f32_32x32x8f16 v[18:33], v[46:47], v[38:39], v[18:33]
	v_mfma_f32_32x32x8f16 v[18:33], v[48:49], v[36:37], v[18:33]
	;; [unrolled: 1-line block ×3, first 2 shown]
	.loc	1 47 25                         ; attention_bwd.py:47:25 @[ attention_bwd.py:200:26 ]
	v_mov_b32_e32 v34, s21
	v_addc_co_u32_e64 v201, s[2:3], v201, v34, s[2:3]
	v_add_co_u32_e64 v204, s[2:3], s20, v204
	v_addc_co_u32_e64 v203, s[2:3], v203, v34, s[2:3]
	v_add_co_u32_e64 v206, s[2:3], s20, v206
	;; [unrolled: 2-line block ×15, first 2 shown]
	v_addc_co_u32_e64 v231, s[2:3], v231, v34, s[2:3]
	s_cbranch_scc1 .LBB0_2
; %bb.3:                                ; %Flow918
	.loc	1 0 25 is_stmt 0                ; attention_bwd.py:0:25
	v_mov_b32_e32 v0, s21
	v_add_co_u32_e64 v48, s[2:3], s20, v190
	v_addc_co_u32_e64 v49, s[2:3], v191, v0, s[2:3]
	v_add_co_u32_e64 v46, s[2:3], s20, v188
	v_addc_co_u32_e64 v47, s[2:3], v189, v0, s[2:3]
	;; [unrolled: 2-line block ×16, first 2 shown]
	v_mov_b32_e32 v179, v145
	v_mov_b32_e32 v78, v144
	;; [unrolled: 1-line block ×30, first 2 shown]
	buffer_load_dword v182, off, s[52:55], 0 offset:396 ; 4-byte Folded Reload
	buffer_load_dword v136, off, s[52:55], 0 offset:400 ; 4-byte Folded Reload
	;; [unrolled: 1-line block ×128, first 2 shown]
	v_mov_b32_e32 v193, v115
	v_mov_b32_e32 v195, v114
	.loc	1 48 21 is_stmt 1               ; attention_bwd.py:48:21 @[ attention_bwd.py:200:26 ]
	v_cndmask_b32_e64 v0, 0, 1, vcc
	v_cmp_ne_u32_e64 s[2:3], 1, v0
	s_andn2_b64 vcc, exec, vcc
	s_cbranch_vccz .LBB0_13
.LBB0_4:
	.loc	1 0 21 is_stmt 0                ; attention_bwd.py:0:21
	v_mov_b32_e32 v0, 0
	.loc	1 48 21                         ; attention_bwd.py:48:21 @[ attention_bwd.py:200:26 ]
	s_and_b64 vcc, exec, s[2:3]
	s_cbranch_vccz .LBB0_14
.LBB0_5:
	.loc	1 0 21                          ; attention_bwd.py:0:21
	v_mov_b32_e32 v1, 0
	.loc	1 48 21                         ; attention_bwd.py:48:21 @[ attention_bwd.py:200:26 ]
	s_and_b64 vcc, exec, s[2:3]
	s_cbranch_vccz .LBB0_15
.LBB0_6:
	.loc	1 0 21                          ; attention_bwd.py:0:21
	v_mov_b32_e32 v73, 0
	.loc	1 48 21                         ; attention_bwd.py:48:21 @[ attention_bwd.py:200:26 ]
	s_and_b64 vcc, exec, s[2:3]
	s_cbranch_vccz .LBB0_16
.LBB0_7:
	.loc	1 0 21                          ; attention_bwd.py:0:21
	s_waitcnt vmcnt(53)
	v_mov_b32_e32 v74, 0
	.loc	1 48 21                         ; attention_bwd.py:48:21 @[ attention_bwd.py:200:26 ]
	s_and_b64 vcc, exec, s[2:3]
	s_cbranch_vccz .LBB0_17
.LBB0_8:
	.loc	1 0 21                          ; attention_bwd.py:0:21
	s_waitcnt vmcnt(52)
	v_mov_b32_e32 v75, 0
	.loc	1 48 21                         ; attention_bwd.py:48:21 @[ attention_bwd.py:200:26 ]
	s_and_b64 vcc, exec, s[2:3]
	s_cbranch_vccz .LBB0_18
.LBB0_9:
	.loc	1 0 21                          ; attention_bwd.py:0:21
	s_waitcnt vmcnt(51)
	v_mov_b32_e32 v76, 0
	.loc	1 48 21                         ; attention_bwd.py:48:21 @[ attention_bwd.py:200:26 ]
	s_and_b64 vcc, exec, s[2:3]
	s_cbranch_vccz .LBB0_19
.LBB0_10:
	.loc	1 0 21                          ; attention_bwd.py:0:21
	s_waitcnt vmcnt(50)
	v_mov_b32_e32 v77, 0
	.loc	1 48 21                         ; attention_bwd.py:48:21 @[ attention_bwd.py:200:26 ]
	s_and_b64 vcc, exec, s[2:3]
	s_cbranch_vccz .LBB0_20
.LBB0_11:
	.loc	1 0 21                          ; attention_bwd.py:0:21
	v_mov_b32_e32 v174, 0
	.loc	1 48 21                         ; attention_bwd.py:48:21 @[ attention_bwd.py:200:26 ]
	s_branch .LBB0_21
.LBB0_12:
	.loc	1 0 21                          ; attention_bwd.py:0:21
	v_mov_b32_e32 v0, s48
	v_add_co_u32_e64 v1, s[2:3], s35, v234
	v_addc_co_u32_e64 v0, s[2:3], v0, v235, s[2:3]
	v_add_co_u32_e64 v48, s[2:3], v1, v176
	v_addc_co_u32_e64 v49, s[2:3], v0, v177, s[2:3]
	;; [unrolled: 2-line block ×9, first 2 shown]
	v_mov_b32_e32 v0, s34
	v_add_co_u32_e64 v1, s[2:3], s33, v2
	v_addc_co_u32_e64 v0, s[2:3], v0, v3, s[2:3]
	v_mov_b32_e32 v2, s34
	v_add_co_u32_e64 v3, s[2:3], s33, v4
	v_addc_co_u32_e64 v2, s[2:3], v2, v5, s[2:3]
	;; [unrolled: 3-line block ×8, first 2 shown]
	v_add_co_u32_e64 v162, s[2:3], v1, v150
	v_addc_co_u32_e64 v163, s[2:3], v0, v151, s[2:3]
	v_add_co_u32_e64 v160, s[2:3], v3, v150
	v_addc_co_u32_e64 v161, s[2:3], v2, v151, s[2:3]
	;; [unrolled: 2-line block ×7, first 2 shown]
	v_add_co_u32_e64 v146, s[2:3], v15, v150
	v_mov_b32_e32 v17, 0
	v_addc_co_u32_e64 v147, s[2:3], v14, v151, s[2:3]
	v_mov_b32_e32 v16, v17
	v_mov_b32_e32 v15, v17
	;; [unrolled: 1-line block ×31, first 2 shown]
	.loc	1 48 21 is_stmt 1               ; attention_bwd.py:48:21 @[ attention_bwd.py:200:26 ]
	v_cndmask_b32_e64 v0, 0, 1, vcc
	v_cmp_ne_u32_e64 s[2:3], 1, v0
	s_andn2_b64 vcc, exec, vcc
	s_cbranch_vccnz .LBB0_4
.LBB0_13:
	global_load_ushort v0, v[48:49], off
	s_and_b64 vcc, exec, s[2:3]
	s_cbranch_vccnz .LBB0_5
.LBB0_14:
	global_load_ushort v1, v[46:47], off
	s_and_b64 vcc, exec, s[2:3]
	s_cbranch_vccnz .LBB0_6
.LBB0_15:
	global_load_ushort v73, v[44:45], off
	s_and_b64 vcc, exec, s[2:3]
	s_cbranch_vccnz .LBB0_7
.LBB0_16:
	global_load_ushort v74, v[42:43], off
	s_and_b64 vcc, exec, s[2:3]
	s_cbranch_vccnz .LBB0_8
.LBB0_17:
	global_load_ushort v75, v[40:41], off
	s_and_b64 vcc, exec, s[2:3]
	s_cbranch_vccnz .LBB0_9
.LBB0_18:
	global_load_ushort v76, v[38:39], off
	s_and_b64 vcc, exec, s[2:3]
	s_cbranch_vccnz .LBB0_10
.LBB0_19:
	global_load_ushort v77, v[36:37], off
	s_and_b64 vcc, exec, s[2:3]
	s_cbranch_vccnz .LBB0_11
.LBB0_20:
	global_load_ushort v174, v[34:35], off
.LBB0_21:
	s_waitcnt vmcnt(32)
	v_add_u32_e32 v50, 0, v62
	v_add_u32_e32 v114, 0, v104
	.loc	1 52 24                         ; attention_bwd.py:52:24 @[ attention_bwd.py:200:26 ]
	s_and_b64 vcc, exec, s[2:3]
	.loc	1 48 21                         ; attention_bwd.py:48:21 @[ attention_bwd.py:200:26 ]
	v_add_u32_e32 v115, v50, v103
	s_waitcnt lgkmcnt(0)
	s_barrier
	s_waitcnt vmcnt(0)
	ds_write_b16 v114, v0
	ds_write_b16 v114, v1 offset:1024
	ds_write_b16 v114, v73 offset:2048
	;; [unrolled: 1-line block ×7, first 2 shown]
	s_waitcnt lgkmcnt(0)
	s_barrier
	.loc	1 52 24                         ; attention_bwd.py:52:24 @[ attention_bwd.py:200:26 ]
	s_cbranch_vccnz .LBB0_26
; %bb.22:
	.loc	1 48 21                         ; attention_bwd.py:48:21 @[ attention_bwd.py:200:26 ]
	ds_read_u16 v34, v115 offset:192
	ds_read_u16 v51, v115 offset:512
	;; [unrolled: 1-line block ×4, first 2 shown]
	ds_read_u16 v37, v115
	.loc	1 52 24                         ; attention_bwd.py:52:24 @[ attention_bwd.py:200:26 ]
	s_mov_b32 s6, 0x5040100
	v_mov_b32_e32 v59, v228
	v_pk_mov_b32 v[230:231], v[56:57], v[56:57] op_sel:[0,1]
	v_pk_mov_b32 v[228:229], v[54:55], v[54:55] op_sel:[0,1]
	s_waitcnt lgkmcnt(2)
	v_perm_b32 v55, v34, v35, s6
	s_waitcnt lgkmcnt(0)
	v_perm_b32 v54, v36, v37, s6
	s_nop 1
	v_mfma_f32_32x32x8f16 v[34:49], v[54:55], v[252:253], 0
	.loc	1 48 21                         ; attention_bwd.py:48:21 @[ attention_bwd.py:200:26 ]
	ds_read_u16 v54, v115 offset:704
	ds_read_u16 v55, v115 offset:640
	;; [unrolled: 1-line block ×3, first 2 shown]
	.loc	1 52 24                         ; attention_bwd.py:52:24 @[ attention_bwd.py:200:26 ]
	s_waitcnt lgkmcnt(1)
	v_perm_b32 v55, v54, v55, s6
	s_waitcnt lgkmcnt(0)
	v_perm_b32 v54, v56, v51, s6
	s_nop 1
	v_mfma_f32_32x32x8f16 v[34:49], v[54:55], v[248:249], v[34:49]
	.loc	1 48 21                         ; attention_bwd.py:48:21 @[ attention_bwd.py:200:26 ]
	ds_read_u16 v51, v115 offset:1216
	ds_read_u16 v56, v115 offset:1536
	;; [unrolled: 1-line block ×5, first 2 shown]
	.loc	1 52 24                         ; attention_bwd.py:52:24 @[ attention_bwd.py:200:26 ]
	s_waitcnt lgkmcnt(2)
	v_perm_b32 v55, v51, v54, s6
	s_waitcnt lgkmcnt(0)
	v_perm_b32 v54, v57, v58, s6
	s_nop 1
	v_mfma_f32_32x32x8f16 v[34:49], v[54:55], v[228:229], v[34:49]
	.loc	1 48 21                         ; attention_bwd.py:48:21 @[ attention_bwd.py:200:26 ]
	ds_read_u16 v51, v115 offset:1728
	ds_read_u16 v54, v115 offset:1664
	;; [unrolled: 1-line block ×3, first 2 shown]
	v_mov_b32_e32 v228, v59
	.loc	1 52 24                         ; attention_bwd.py:52:24 @[ attention_bwd.py:200:26 ]
	s_waitcnt lgkmcnt(1)
	v_perm_b32 v55, v51, v54, s6
	s_waitcnt lgkmcnt(0)
	v_perm_b32 v54, v57, v56, s6
	s_nop 1
	v_mfma_f32_32x32x8f16 v[34:49], v[54:55], v[96:97], v[34:49]
	.loc	1 48 21                         ; attention_bwd.py:48:21 @[ attention_bwd.py:200:26 ]
	ds_read_u16 v51, v115 offset:2240
	ds_read_u16 v56, v115 offset:2560
	ds_read_u16 v54, v115 offset:2176
	ds_read_u16 v57, v115 offset:2112
	ds_read_u16 v58, v115 offset:2048
	.loc	1 52 24                         ; attention_bwd.py:52:24 @[ attention_bwd.py:200:26 ]
	s_waitcnt lgkmcnt(2)
	v_perm_b32 v55, v51, v54, s6
	s_waitcnt lgkmcnt(0)
	v_perm_b32 v54, v57, v58, s6
	s_nop 1
	v_mfma_f32_32x32x8f16 v[34:49], v[54:55], v[92:93], v[34:49]
	.loc	1 48 21                         ; attention_bwd.py:48:21 @[ attention_bwd.py:200:26 ]
	ds_read_u16 v51, v115 offset:2752
	ds_read_u16 v54, v115 offset:2688
	ds_read_u16 v57, v115 offset:2624
	.loc	1 52 24                         ; attention_bwd.py:52:24 @[ attention_bwd.py:200:26 ]
	s_waitcnt lgkmcnt(1)
	v_perm_b32 v55, v51, v54, s6
	s_waitcnt lgkmcnt(0)
	v_perm_b32 v54, v57, v56, s6
	s_nop 1
	v_mfma_f32_32x32x8f16 v[34:49], v[54:55], v[88:89], v[34:49]
	.loc	1 48 21                         ; attention_bwd.py:48:21 @[ attention_bwd.py:200:26 ]
	ds_read_u16 v51, v115 offset:3264
	ds_read_u16 v56, v115 offset:3584
	ds_read_u16 v54, v115 offset:3200
	ds_read_u16 v57, v115 offset:3136
	ds_read_u16 v58, v115 offset:3072
	.loc	1 52 24                         ; attention_bwd.py:52:24 @[ attention_bwd.py:200:26 ]
	s_waitcnt lgkmcnt(2)
	v_perm_b32 v55, v51, v54, s6
	s_waitcnt lgkmcnt(0)
	v_perm_b32 v54, v57, v58, s6
	s_nop 1
	v_mfma_f32_32x32x8f16 v[34:49], v[54:55], v[132:133], v[34:49]
	.loc	1 48 21                         ; attention_bwd.py:48:21 @[ attention_bwd.py:200:26 ]
	ds_read_u16 v51, v115 offset:3776
	ds_read_u16 v54, v115 offset:3712
	ds_read_u16 v57, v115 offset:3648
	.loc	1 52 24                         ; attention_bwd.py:52:24 @[ attention_bwd.py:200:26 ]
	s_waitcnt lgkmcnt(1)
	v_perm_b32 v55, v51, v54, s6
	s_waitcnt lgkmcnt(0)
	v_perm_b32 v54, v57, v56, s6
	s_nop 1
	v_mfma_f32_32x32x8f16 v[34:49], v[54:55], v[128:129], v[34:49]
	.loc	1 48 21                         ; attention_bwd.py:48:21 @[ attention_bwd.py:200:26 ]
	ds_read_u16 v51, v115 offset:4288
	ds_read_u16 v56, v115 offset:4608
	ds_read_u16 v54, v115 offset:4224
	ds_read_u16 v57, v115 offset:4160
	ds_read_u16 v58, v115 offset:4096
	.loc	1 52 24                         ; attention_bwd.py:52:24 @[ attention_bwd.py:200:26 ]
	s_waitcnt lgkmcnt(2)
	v_perm_b32 v55, v51, v54, s6
	s_waitcnt lgkmcnt(0)
	v_perm_b32 v54, v57, v58, s6
	s_nop 1
	v_mfma_f32_32x32x8f16 v[34:49], v[54:55], v[254:255], v[34:49]
	.loc	1 48 21                         ; attention_bwd.py:48:21 @[ attention_bwd.py:200:26 ]
	ds_read_u16 v51, v115 offset:4800
	ds_read_u16 v54, v115 offset:4736
	ds_read_u16 v57, v115 offset:4672
	.loc	1 52 24                         ; attention_bwd.py:52:24 @[ attention_bwd.py:200:26 ]
	s_waitcnt lgkmcnt(1)
	v_perm_b32 v55, v51, v54, s6
	s_waitcnt lgkmcnt(0)
	v_perm_b32 v54, v57, v56, s6
	s_nop 1
	v_mfma_f32_32x32x8f16 v[34:49], v[54:55], v[250:251], v[34:49]
	.loc	1 48 21                         ; attention_bwd.py:48:21 @[ attention_bwd.py:200:26 ]
	ds_read_u16 v51, v115 offset:5312
	ds_read_u16 v56, v115 offset:5632
	ds_read_u16 v54, v115 offset:5248
	ds_read_u16 v57, v115 offset:5184
	ds_read_u16 v58, v115 offset:5120
	.loc	1 52 24                         ; attention_bwd.py:52:24 @[ attention_bwd.py:200:26 ]
	s_waitcnt lgkmcnt(2)
	v_perm_b32 v55, v51, v54, s6
	s_waitcnt lgkmcnt(0)
	v_perm_b32 v54, v57, v58, s6
	s_nop 1
	v_mfma_f32_32x32x8f16 v[34:49], v[54:55], v[230:231], v[34:49]
	.loc	1 48 21                         ; attention_bwd.py:48:21 @[ attention_bwd.py:200:26 ]
	ds_read_u16 v51, v115 offset:5824
	ds_read_u16 v54, v115 offset:5760
	ds_read_u16 v57, v115 offset:5696
	.loc	1 52 24                         ; attention_bwd.py:52:24 @[ attention_bwd.py:200:26 ]
	s_waitcnt lgkmcnt(1)
	v_perm_b32 v55, v51, v54, s6
	s_waitcnt lgkmcnt(0)
	v_perm_b32 v54, v57, v56, s6
	s_nop 1
	v_mfma_f32_32x32x8f16 v[34:49], v[54:55], v[98:99], v[34:49]
	.loc	1 48 21                         ; attention_bwd.py:48:21 @[ attention_bwd.py:200:26 ]
	ds_read_u16 v51, v115 offset:6336
	ds_read_u16 v56, v115 offset:6656
	ds_read_u16 v54, v115 offset:6272
	ds_read_u16 v57, v115 offset:6208
	ds_read_u16 v58, v115 offset:6144
	.loc	1 52 24                         ; attention_bwd.py:52:24 @[ attention_bwd.py:200:26 ]
	s_waitcnt lgkmcnt(2)
	v_perm_b32 v55, v51, v54, s6
	s_waitcnt lgkmcnt(0)
	v_perm_b32 v54, v57, v58, s6
	s_nop 1
	v_mfma_f32_32x32x8f16 v[34:49], v[54:55], v[94:95], v[34:49]
	.loc	1 48 21                         ; attention_bwd.py:48:21 @[ attention_bwd.py:200:26 ]
	ds_read_u16 v51, v115 offset:6848
	ds_read_u16 v54, v115 offset:6784
	ds_read_u16 v57, v115 offset:6720
	.loc	1 52 24                         ; attention_bwd.py:52:24 @[ attention_bwd.py:200:26 ]
	s_waitcnt lgkmcnt(1)
	v_perm_b32 v55, v51, v54, s6
	s_waitcnt lgkmcnt(0)
	v_perm_b32 v54, v57, v56, s6
	s_nop 1
	v_mfma_f32_32x32x8f16 v[34:49], v[54:55], v[90:91], v[34:49]
	.loc	1 48 21                         ; attention_bwd.py:48:21 @[ attention_bwd.py:200:26 ]
	ds_read_u16 v51, v115 offset:7360
	ds_read_u16 v56, v115 offset:7680
	ds_read_u16 v54, v115 offset:7296
	ds_read_u16 v57, v115 offset:7232
	ds_read_u16 v58, v115 offset:7168
	.loc	1 52 24                         ; attention_bwd.py:52:24 @[ attention_bwd.py:200:26 ]
	s_waitcnt lgkmcnt(2)
	v_perm_b32 v55, v51, v54, s6
	s_waitcnt lgkmcnt(0)
	v_perm_b32 v54, v57, v58, s6
	s_nop 1
	v_mfma_f32_32x32x8f16 v[34:49], v[54:55], v[134:135], v[34:49]
	.loc	1 48 21                         ; attention_bwd.py:48:21 @[ attention_bwd.py:200:26 ]
	ds_read_u16 v51, v115 offset:7872
	ds_read_u16 v54, v115 offset:7808
	ds_read_u16 v57, v115 offset:7744
	.loc	1 52 24                         ; attention_bwd.py:52:24 @[ attention_bwd.py:200:26 ]
	s_waitcnt lgkmcnt(1)
	v_perm_b32 v55, v51, v54, s6
	s_waitcnt lgkmcnt(0)
	v_perm_b32 v54, v57, v56, s6
	s_nop 1
	v_mfma_f32_32x32x8f16 v[34:49], v[54:55], v[130:131], v[34:49]
	.loc	1 58 21                         ; attention_bwd.py:58:21 @[ attention_bwd.py:200:26 ]
	s_and_b64 vcc, exec, s[2:3]
	s_cbranch_vccz .LBB0_27
.LBB0_23:
	.loc	1 0 21 is_stmt 0                ; attention_bwd.py:0:21
	v_mov_b32_e32 v51, 0
	.loc	1 58 21                         ; attention_bwd.py:58:21 @[ attention_bwd.py:200:26 ]
	s_and_b64 vcc, exec, s[2:3]
	s_cbranch_vccz .LBB0_28
.LBB0_24:
	.loc	1 0 21                          ; attention_bwd.py:0:21
	v_mov_b32_e32 v54, 0
	.loc	1 58 21                         ; attention_bwd.py:58:21 @[ attention_bwd.py:200:26 ]
	s_and_b64 vcc, exec, s[2:3]
	s_cbranch_vccz .LBB0_29
.Ltmp21:
.LBB0_25:
	.loc	1 0 21                          ; attention_bwd.py:0:21
	v_mov_b32_e32 v55, 0
	s_branch .LBB0_30
.LBB0_26:
	.loc	1 200 26 is_stmt 1              ; attention_bwd.py:200:26
	v_mov_b32_e32 v34, 0
	v_mov_b32_e32 v35, 0
	;; [unrolled: 1-line block ×16, first 2 shown]
.Ltmp22:
	.loc	1 58 21                         ; attention_bwd.py:58:21 @[ attention_bwd.py:200:26 ]
	s_and_b64 vcc, exec, s[2:3]
	s_cbranch_vccnz .LBB0_23
.LBB0_27:
	global_load_ushort v51, v[162:163], off
	s_and_b64 vcc, exec, s[2:3]
	s_cbranch_vccnz .LBB0_24
.LBB0_28:
	global_load_ushort v54, v[160:161], off
	s_and_b64 vcc, exec, s[2:3]
	s_cbranch_vccnz .LBB0_25
.LBB0_29:
	global_load_ushort v55, v[158:159], off
.LBB0_30:
	.loc	1 0 21 is_stmt 0                ; attention_bwd.py:0:21
	s_nop 0
	buffer_load_dword v158, off, s[52:55], 0 offset:4 ; 4-byte Folded Reload
	buffer_load_dword v159, off, s[52:55], 0 offset:8 ; 4-byte Folded Reload
	;; [unrolled: 1-line block ×4, first 2 shown]
	.loc	1 58 21 is_stmt 1               ; attention_bwd.py:58:21 @[ attention_bwd.py:200:26 ]
	s_and_b64 vcc, exec, s[2:3]
	s_cbranch_vccnz .LBB0_36
; %bb.31:
	global_load_ushort v56, v[156:157], off
	s_and_b64 vcc, exec, s[2:3]
	s_cbranch_vccz .LBB0_37
.LBB0_32:
	.loc	1 0 21 is_stmt 0                ; attention_bwd.py:0:21
	v_mov_b32_e32 v57, 0
	.loc	1 58 21                         ; attention_bwd.py:58:21 @[ attention_bwd.py:200:26 ]
	s_and_b64 vcc, exec, s[2:3]
	s_cbranch_vccz .LBB0_38
.LBB0_33:
	.loc	1 0 21                          ; attention_bwd.py:0:21
	v_mov_b32_e32 v58, 0
	.loc	1 58 21                         ; attention_bwd.py:58:21 @[ attention_bwd.py:200:26 ]
	s_and_b64 vcc, exec, s[2:3]
	s_cbranch_vccz .LBB0_39
.LBB0_34:
	.loc	1 0 21                          ; attention_bwd.py:0:21
	v_mov_b32_e32 v59, 0
	.loc	1 58 21                         ; attention_bwd.py:58:21 @[ attention_bwd.py:200:26 ]
	s_and_b64 vcc, exec, s[2:3]
	s_cbranch_vccz .LBB0_40
.LBB0_35:
	.loc	1 0 21                          ; attention_bwd.py:0:21
	v_mov_b32_e32 v60, 0
	.loc	1 58 21                         ; attention_bwd.py:58:21 @[ attention_bwd.py:200:26 ]
	s_branch .LBB0_41
.LBB0_36:
	.loc	1 0 21                          ; attention_bwd.py:0:21
	v_mov_b32_e32 v56, 0
	.loc	1 58 21                         ; attention_bwd.py:58:21 @[ attention_bwd.py:200:26 ]
	s_and_b64 vcc, exec, s[2:3]
	s_cbranch_vccnz .LBB0_32
.LBB0_37:
	global_load_ushort v57, v[154:155], off
	s_and_b64 vcc, exec, s[2:3]
	s_cbranch_vccnz .LBB0_33
.LBB0_38:
	global_load_ushort v58, v[152:153], off
	s_and_b64 vcc, exec, s[2:3]
	s_cbranch_vccnz .LBB0_34
.LBB0_39:
	global_load_ushort v59, v[148:149], off
	s_and_b64 vcc, exec, s[2:3]
	s_cbranch_vccnz .LBB0_35
.LBB0_40:
	global_load_ushort v60, v[146:147], off
.LBB0_41:
	.loc	1 53 32 is_stmt 1               ; attention_bwd.py:53:32 @[ attention_bwd.py:200:26 ]
	v_sub_f32_e32 v34, v34, v195
	v_sub_f32_e32 v35, v35, v193
	.loc	1 53 26 is_stmt 0               ; attention_bwd.py:53:26 @[ attention_bwd.py:200:26 ]
	v_exp_f32_e32 v154, v34
	.loc	1 53 32                         ; attention_bwd.py:53:32 @[ attention_bwd.py:200:26 ]
	v_sub_f32_e32 v36, v36, v192
	.loc	1 53 26                         ; attention_bwd.py:53:26 @[ attention_bwd.py:200:26 ]
	v_exp_f32_e32 v155, v35
	.loc	1 53 32                         ; attention_bwd.py:53:32 @[ attention_bwd.py:200:26 ]
	v_sub_f32_e32 v37, v37, v171
	.loc	1 53 26                         ; attention_bwd.py:53:26 @[ attention_bwd.py:200:26 ]
	v_exp_f32_e32 v81, v36
	.loc	1 53 32                         ; attention_bwd.py:53:32 @[ attention_bwd.py:200:26 ]
	v_sub_f32_e32 v38, v38, v170
	v_sub_f32_e32 v39, v39, v167
	;; [unrolled: 1-line block ×12, first 2 shown]
	.loc	1 53 26                         ; attention_bwd.py:53:26 @[ attention_bwd.py:200:26 ]
	v_exp_f32_e32 v82, v37
	v_exp_f32_e32 v83, v38
	;; [unrolled: 1-line block ×13, first 2 shown]
	.loc	1 61 21 is_stmt 1               ; attention_bwd.py:61:21 @[ attention_bwd.py:200:26 ]
	v_cvt_f16_f32_e32 v34, v154
	v_cvt_f16_f32_e32 v35, v155
	v_add_u32_e32 v50, v50, v62
	v_cvt_f16_f32_e32 v36, v81
	v_add_u32_e32 v52, v50, v215
	;; [unrolled: 2-line block ×3, first 2 shown]
	v_cvt_f16_f32_e32 v38, v83
	v_cvt_f16_f32_e32 v39, v156
	;; [unrolled: 1-line block ×12, first 2 shown]
	s_waitcnt lgkmcnt(0)
	s_barrier
	ds_write_b16 v106, v34
	ds_write_b16 v106, v35 offset:128
	ds_write_b16 v106, v36 offset:256
	;; [unrolled: 1-line block ×15, first 2 shown]
	v_add_u32_e32 v34, v50, v61
	v_add_u32_e32 v107, v34, v103
	s_waitcnt lgkmcnt(0)
	s_barrier
	ds_read_u16 v99, v107
	ds_read_u16 v100, v107 offset:128
	ds_read_u16 v101, v107 offset:256
	;; [unrolled: 1-line block ×15, first 2 shown]
	.loc	1 62 26                         ; attention_bwd.py:62:26 @[ attention_bwd.py:200:26 ]
	s_and_b64 vcc, exec, s[2:3]
	v_mov_b32_e32 v34, v2
	v_mov_b32_e32 v35, v3
	;; [unrolled: 1-line block ×16, first 2 shown]
	.loc	1 58 21                         ; attention_bwd.py:58:21 @[ attention_bwd.py:200:26 ]
	s_waitcnt lgkmcnt(0)
	s_barrier
	s_waitcnt vmcnt(4)
	ds_write_b16 v114, v51
	ds_write_b16 v114, v54 offset:1024
	ds_write_b16 v114, v55 offset:2048
	s_waitcnt vmcnt(0)
	ds_write_b16 v114, v56 offset:3072
	ds_write_b16 v114, v57 offset:4096
	;; [unrolled: 1-line block ×5, first 2 shown]
	s_waitcnt lgkmcnt(0)
	s_barrier
	.loc	1 62 26                         ; attention_bwd.py:62:26 @[ attention_bwd.py:200:26 ]
	s_cbranch_vccnz .LBB0_43
; %bb.42:
	.loc	1 58 21                         ; attention_bwd.py:58:21 @[ attention_bwd.py:200:26 ]
	v_add_u32_e32 v34, 0, v113
	v_add3_u32 v103, v34, v105, v103
	ds_read_u16 v34, v103 offset:768
	ds_read_u16 v35, v103 offset:512
	ds_read_u16 v36, v103 offset:256
	ds_read_u16 v37, v103
	.loc	1 62 26                         ; attention_bwd.py:62:26 @[ attention_bwd.py:200:26 ]
	s_mov_b32 s6, 0x5040100
	v_mov_b32_e32 v108, v104
	s_waitcnt lgkmcnt(2)
	v_perm_b32 v105, v34, v35, s6
	v_perm_b32 v101, v102, v101, s6
	s_waitcnt lgkmcnt(0)
	v_perm_b32 v104, v36, v37, s6
	v_pk_mov_b32 v[48:49], v[16:17], v[16:17] op_sel:[0,1]
	v_perm_b32 v100, v100, v99, s6
	v_pk_mov_b32 v[46:47], v[14:15], v[14:15] op_sel:[0,1]
	v_pk_mov_b32 v[44:45], v[12:13], v[12:13] op_sel:[0,1]
	;; [unrolled: 1-line block ×7, first 2 shown]
	v_perm_b32 v97, v98, v97, s6
	v_perm_b32 v96, v96, v95, s6
	v_mfma_f32_32x32x8f16 v[34:49], v[104:105], v[100:101], v[34:49]
	.loc	1 58 21                         ; attention_bwd.py:58:21 @[ attention_bwd.py:200:26 ]
	ds_read_u16 v99, v103 offset:2816
	ds_read_u16 v100, v103 offset:2560
	;; [unrolled: 1-line block ×4, first 2 shown]
	.loc	1 62 26                         ; attention_bwd.py:62:26 @[ attention_bwd.py:200:26 ]
	v_perm_b32 v65, v65, v64, s6
	v_perm_b32 v64, v63, v62, s6
	s_waitcnt lgkmcnt(2)
	v_perm_b32 v101, v99, v100, s6
	v_perm_b32 v53, v61, v53, s6
	s_waitcnt lgkmcnt(0)
	v_perm_b32 v100, v102, v104, s6
	v_perm_b32 v52, v52, v50, s6
	v_mov_b32_e32 v104, v108
	v_mfma_f32_32x32x8f16 v[34:49], v[100:101], v[96:97], v[34:49]
	.loc	1 58 21                         ; attention_bwd.py:58:21 @[ attention_bwd.py:200:26 ]
	ds_read_u16 v95, v103 offset:4864
	ds_read_u16 v96, v103 offset:4608
	;; [unrolled: 1-line block ×4, first 2 shown]
	.loc	1 62 26                         ; attention_bwd.py:62:26 @[ attention_bwd.py:200:26 ]
	s_waitcnt lgkmcnt(2)
	v_perm_b32 v97, v95, v96, s6
	s_waitcnt lgkmcnt(0)
	v_perm_b32 v96, v98, v99, s6
	s_nop 1
	v_mfma_f32_32x32x8f16 v[34:49], v[96:97], v[64:65], v[34:49]
	.loc	1 58 21                         ; attention_bwd.py:58:21 @[ attention_bwd.py:200:26 ]
	ds_read_u16 v62, v103 offset:6912
	ds_read_u16 v63, v103 offset:6656
	;; [unrolled: 1-line block ×4, first 2 shown]
	.loc	1 62 26                         ; attention_bwd.py:62:26 @[ attention_bwd.py:200:26 ]
	s_waitcnt lgkmcnt(2)
	v_perm_b32 v63, v62, v63, s6
	s_waitcnt lgkmcnt(0)
	v_perm_b32 v62, v64, v65, s6
	s_nop 1
	v_mfma_f32_32x32x8f16 v[34:49], v[62:63], v[52:53], v[34:49]
.LBB0_43:
	.loc	1 66 24                         ; attention_bwd.py:66:24 @[ attention_bwd.py:200:26 ]
	s_and_b64 vcc, exec, s[2:3]
	.loc	1 66 33 is_stmt 0               ; attention_bwd.py:66:33 @[ attention_bwd.py:200:26 ]
	s_waitcnt lgkmcnt(0)
	s_barrier
	ds_write_b16 v204, v51
	ds_write_b16 v204, v57 offset:4096
	ds_write_b16 v205, v54 offset:1024
	;; [unrolled: 1-line block ×7, first 2 shown]
	s_waitcnt lgkmcnt(0)
	s_barrier
	.loc	1 66 24                         ; attention_bwd.py:66:24 @[ attention_bwd.py:200:26 ]
	s_cbranch_vccnz .LBB0_45
; %bb.44:
	.loc	1 0 24                          ; attention_bwd.py:0:24
	buffer_load_dword v130, off, s[52:55], 0 offset:52 ; 4-byte Folded Reload
	buffer_load_dword v131, off, s[52:55], 0 offset:56 ; 4-byte Folded Reload
	buffer_load_dword v132, off, s[52:55], 0 offset:60 ; 4-byte Folded Reload
	buffer_load_dword v133, off, s[52:55], 0 offset:64 ; 4-byte Folded Reload
	.loc	1 66 33                         ; attention_bwd.py:66:33 @[ attention_bwd.py:200:26 ]
	v_or_b32_e32 v95, v109, v110
	v_add_u32_e32 v50, 0, v95
	ds_read2_b64 v[96:99], v50 offset1:16
	buffer_load_dword v146, off, s[52:55], 0 offset:36 ; 4-byte Folded Reload
	buffer_load_dword v147, off, s[52:55], 0 offset:40 ; 4-byte Folded Reload
	;; [unrolled: 1-line block ×8, first 2 shown]
	v_pk_mov_b32 v[152:153], v[118:119], v[118:119] op_sel:[0,1]
	.loc	1 66 24                         ; attention_bwd.py:66:24 @[ attention_bwd.py:200:26 ]
	s_waitcnt lgkmcnt(0)
	v_mfma_f32_32x32x8f16 v[50:65], v[96:97], v[158:159], 0
	.loc	1 66 33                         ; attention_bwd.py:66:33 @[ attention_bwd.py:200:26 ]
	v_xad_u32 v96, v95, 16, 0
	ds_read2_b64 v[100:103], v96 offset1:16
	v_xad_u32 v96, v95, 32, 0
	v_mov_b32_e32 v97, v111
	ds_read2_b64 v[108:111], v96 offset1:16
	v_xad_u32 v96, v95, 48, 0
	.loc	1 66 24                         ; attention_bwd.py:66:24 @[ attention_bwd.py:200:26 ]
	s_waitcnt vmcnt(10) lgkmcnt(1)
	v_mfma_f32_32x32x8f16 v[50:65], v[100:101], v[130:131], v[50:65]
	buffer_load_dword v128, off, s[52:55], 0 offset:68 ; 4-byte Folded Reload
	buffer_load_dword v129, off, s[52:55], 0 offset:72 ; 4-byte Folded Reload
	;; [unrolled: 1-line block ×4, first 2 shown]
	s_waitcnt vmcnt(0)
	v_pk_mov_b32 v[100:101], v[130:131], v[130:131] op_sel:[0,1]
	s_waitcnt lgkmcnt(0)
	v_mfma_f32_32x32x8f16 v[50:65], v[108:109], v[116:117], v[50:65]
	.loc	1 66 33                         ; attention_bwd.py:66:33 @[ attention_bwd.py:200:26 ]
	ds_read2_b64 v[116:119], v96 offset1:16
	v_xad_u32 v96, v95, 64, 0
	v_pk_mov_b32 v[108:109], v[126:127], v[126:127] op_sel:[0,1]
	.loc	1 66 24                         ; attention_bwd.py:66:24 @[ attention_bwd.py:200:26 ]
	s_waitcnt lgkmcnt(0)
	v_mfma_f32_32x32x8f16 v[50:65], v[116:117], v[120:121], v[50:65]
	v_pk_mov_b32 v[116:117], v[122:123], v[122:123] op_sel:[0,1]
	.loc	1 66 33                         ; attention_bwd.py:66:33 @[ attention_bwd.py:200:26 ]
	ds_read2_b64 v[120:123], v96 offset1:16
	v_xor_b32_e32 v96, 0x50, v95
	v_add_u32_e32 v96, 0, v96
	.loc	1 66 24                         ; attention_bwd.py:66:24 @[ attention_bwd.py:200:26 ]
	s_waitcnt lgkmcnt(0)
	v_mfma_f32_32x32x8f16 v[50:65], v[120:121], v[124:125], v[50:65]
	.loc	1 66 33                         ; attention_bwd.py:66:33 @[ attention_bwd.py:200:26 ]
	ds_read2_b64 v[124:127], v96 offset1:16
	v_xor_b32_e32 v96, 0x60, v95
	v_add_u32_e32 v96, 0, v96
	v_xor_b32_e32 v95, 0x70, v95
	v_add_u32_e32 v95, 0, v95
	v_pk_mov_b32 v[120:121], v[132:133], v[132:133] op_sel:[0,1]
	ds_read2_b64 v[132:135], v95 offset1:16
	.loc	1 66 24                         ; attention_bwd.py:66:24 @[ attention_bwd.py:200:26 ]
	s_waitcnt lgkmcnt(1)
	v_mfma_f32_32x32x8f16 v[50:65], v[124:125], v[128:129], v[50:65]
	.loc	1 66 33                         ; attention_bwd.py:66:33 @[ attention_bwd.py:200:26 ]
	ds_read2_b64 v[128:131], v96 offset1:16
	.loc	1 66 24                         ; attention_bwd.py:66:24 @[ attention_bwd.py:200:26 ]
	s_waitcnt lgkmcnt(0)
	v_mfma_f32_32x32x8f16 v[50:65], v[128:129], v[146:147], v[50:65]
	v_mfma_f32_32x32x8f16 v[50:65], v[132:133], v[162:163], v[50:65]
	;; [unrolled: 1-line block ×5, first 2 shown]
	v_mov_b32_e32 v111, v97
	v_mfma_f32_32x32x8f16 v[50:65], v[118:119], v[116:117], v[50:65]
	v_mfma_f32_32x32x8f16 v[50:65], v[122:123], v[108:109], v[50:65]
	;; [unrolled: 1-line block ×5, first 2 shown]
	s_branch .LBB0_46
.Ltmp23:
.LBB0_45:
	.loc	1 200 26 is_stmt 1              ; attention_bwd.py:200:26
	v_mov_b32_e32 v50, 0
	v_mov_b32_e32 v51, 0
	;; [unrolled: 1-line block ×16, first 2 shown]
.LBB0_46:
.Ltmp24:
	.loc	1 67 26                         ; attention_bwd.py:67:26 @[ attention_bwd.py:200:26 ]
	s_nop 15
	s_nop 1
	v_sub_f32_e32 v50, v50, v72
	v_sub_f32_e32 v60, v60, v66
	.loc	1 68 21                         ; attention_bwd.py:68:21 @[ attention_bwd.py:200:26 ]
	v_fma_mixlo_f16 v66, v154, v50, 0
	.loc	1 69 35                         ; attention_bwd.py:69:35 @[ attention_bwd.py:200:26 ]
	v_lshrrev_b32_e32 v50, 3, v182
	v_and_b32_e32 v50, 56, v50
	.loc	1 67 26                         ; attention_bwd.py:67:26 @[ attention_bwd.py:200:26 ]
	v_sub_f32_e32 v51, v51, v70
	.loc	1 69 35                         ; attention_bwd.py:69:35 @[ attention_bwd.py:200:26 ]
	v_xad_u32 v50, v104, v50, 0
	.loc	1 67 26                         ; attention_bwd.py:67:26 @[ attention_bwd.py:200:26 ]
	v_sub_f32_e32 v61, v61, v67
	.loc	1 68 21                         ; attention_bwd.py:68:21 @[ attention_bwd.py:200:26 ]
	v_fma_mixlo_f16 v67, v155, v51, 0
	.loc	1 69 35                         ; attention_bwd.py:69:35 @[ attention_bwd.py:200:26 ]
	s_waitcnt lgkmcnt(0)
	s_barrier
	ds_write_b16 v50, v0
	ds_write_b16 v50, v1 offset:1024
	ds_write_b16 v50, v73 offset:2048
	ds_write_b16 v50, v74 offset:3072
	ds_write_b16 v50, v75 offset:4096
	ds_write_b16 v50, v76 offset:5120
	ds_write_b16 v50, v77 offset:6144
	ds_write_b16 v50, v174 offset:7168
	s_waitcnt lgkmcnt(0)
	s_barrier
	buffer_load_dword v51, off, s[52:55], 0 offset:392 ; 4-byte Folded Reload
	v_and_b32_e32 v50, 56, v225
	v_lshlrev_b32_e32 v0, 6, v216
	v_lshlrev_b32_e32 v1, 5, v113
	.loc	1 67 26                         ; attention_bwd.py:67:26 @[ attention_bwd.py:200:26 ]
	v_sub_f32_e32 v52, v52, v68
	v_sub_f32_e32 v53, v53, v181
	v_sub_f32_e32 v54, v54, v84
	v_sub_f32_e32 v55, v55, v233
	v_sub_f32_e32 v58, v58, v71
	v_sub_f32_e32 v59, v59, v69
	.loc	1 68 21                         ; attention_bwd.py:68:21 @[ attention_bwd.py:200:26 ]
	v_fma_mixlo_f16 v68, v81, v52, 0
	v_fma_mixlo_f16 v69, v82, v53, 0
	;; [unrolled: 1-line block ×4, first 2 shown]
	.loc	1 67 26                         ; attention_bwd.py:67:26 @[ attention_bwd.py:200:26 ]
	v_sub_f32_e32 v56, v56, v178
	v_sub_f32_e32 v57, v57, v79
	v_sub_f32_e32 v62, v62, v180
	v_sub_f32_e32 v63, v63, v80
	v_sub_f32_e32 v64, v64, v78
	v_sub_f32_e32 v65, v65, v179
	.loc	1 69 26                         ; attention_bwd.py:69:26 @[ attention_bwd.py:200:26 ]
	s_and_b64 vcc, exec, s[2:3]
	.loc	1 68 21                         ; attention_bwd.py:68:21 @[ attention_bwd.py:200:26 ]
	v_fma_mixlo_f16 v56, v85, v56, 0
	v_fma_mixlo_f16 v57, v86, v57, 0
	;; [unrolled: 1-line block ×10, first 2 shown]
	.loc	1 69 35                         ; attention_bwd.py:69:35 @[ attention_bwd.py:200:26 ]
	s_waitcnt vmcnt(0)
	v_xor_b32_e32 v50, v50, v51
	v_or3_b32 v0, v0, v1, v50
	v_add_u32_e32 v1, 0, v0
	v_xad_u32 v50, v0, 16, 0
	v_xad_u32 v51, v0, 32, 0
	;; [unrolled: 1-line block ×3, first 2 shown]
	ds_read_b64 v[54:55], v1
	ds_read_b64 v[52:53], v50
	;; [unrolled: 1-line block ×4, first 2 shown]
	.loc	1 68 21                         ; attention_bwd.py:68:21 @[ attention_bwd.py:200:26 ]
	s_waitcnt lgkmcnt(0)
	s_barrier
	ds_write_b16 v106, v66
	ds_write_b16 v106, v67 offset:128
	ds_write_b16 v106, v68 offset:256
	;; [unrolled: 1-line block ×15, first 2 shown]
	s_waitcnt lgkmcnt(0)
	s_barrier
	.loc	1 69 26                         ; attention_bwd.py:69:26 @[ attention_bwd.py:200:26 ]
	s_cbranch_vccnz .LBB0_48
; %bb.47:
	.loc	1 68 21                         ; attention_bwd.py:68:21 @[ attention_bwd.py:200:26 ]
	ds_read_u16 v2, v107 offset:384
	ds_read_u16 v3, v107 offset:256
	;; [unrolled: 1-line block ×3, first 2 shown]
	ds_read_u16 v5, v107
	.loc	1 69 26                         ; attention_bwd.py:69:26 @[ attention_bwd.py:200:26 ]
	s_mov_b32 s6, 0x5040100
	v_mov_b32_e32 v17, v49
	s_waitcnt lgkmcnt(2)
	v_perm_b32 v3, v2, v3, s6
	v_mov_b32_e32 v16, v48
	s_waitcnt lgkmcnt(0)
	v_perm_b32 v2, v4, v5, s6
	v_mov_b32_e32 v15, v47
	v_mov_b32_e32 v14, v46
	v_mfma_f32_32x32x8f16 v[18:33], v[54:55], v[2:3], v[18:33]
	.loc	1 68 21                         ; attention_bwd.py:68:21 @[ attention_bwd.py:200:26 ]
	ds_read_u16 v2, v107 offset:1408
	ds_read_u16 v3, v107 offset:1280
	;; [unrolled: 1-line block ×4, first 2 shown]
	v_mov_b32_e32 v13, v45
	v_mov_b32_e32 v12, v44
	.loc	1 69 26                         ; attention_bwd.py:69:26 @[ attention_bwd.py:200:26 ]
	s_waitcnt lgkmcnt(2)
	v_perm_b32 v3, v2, v3, s6
	v_mov_b32_e32 v11, v43
	s_waitcnt lgkmcnt(0)
	v_perm_b32 v2, v4, v5, s6
	v_mov_b32_e32 v10, v42
	s_nop 0
	v_mfma_f32_32x32x8f16 v[18:33], v[52:53], v[2:3], v[18:33]
	.loc	1 68 21                         ; attention_bwd.py:68:21 @[ attention_bwd.py:200:26 ]
	ds_read_u16 v4, v107 offset:3456
	ds_read_u16 v5, v107 offset:3328
	ds_read_u16 v2, v107 offset:2432
	ds_read_u16 v3, v107 offset:2304
	ds_read_u16 v6, v107 offset:2176
	ds_read_u16 v7, v107 offset:2048
	ds_read_u16 v8, v107 offset:3200
	ds_read_u16 v9, v107 offset:3072
	.loc	1 69 26                         ; attention_bwd.py:69:26 @[ attention_bwd.py:200:26 ]
	s_waitcnt lgkmcnt(4)
	v_perm_b32 v3, v2, v3, s6
	v_perm_b32 v53, v4, v5, s6
	s_waitcnt lgkmcnt(2)
	v_perm_b32 v2, v6, v7, s6
	v_mov_b32_e32 v7, v39
	s_waitcnt lgkmcnt(0)
	v_perm_b32 v52, v8, v9, s6
	v_mov_b32_e32 v9, v41
	v_mov_b32_e32 v8, v40
	;; [unrolled: 1-line block ×5, first 2 shown]
	v_mfma_f32_32x32x8f16 v[18:33], v[50:51], v[2:3], v[18:33]
	v_mov_b32_e32 v3, v35
	v_mov_b32_e32 v2, v34
	v_mfma_f32_32x32x8f16 v[18:33], v[0:1], v[52:53], v[18:33]
.Ltmp25:
.LBB0_48:                               ; %._crit_edge300
	.loc	1 165 36                        ; attention_bwd.py:165:36
	v_lshrrev_b32_e32 v0, 3, v112
	.loc	1 153 10                        ; attention_bwd.py:153:10
	s_add_u32 s6, s38, s4
	.loc	1 165 23                        ; attention_bwd.py:165:23
	v_or3_b32 v0, v216, v0, s26
	.loc	1 171 58                        ; attention_bwd.py:171:58
	v_lshrrev_b32_e32 v1, 1, v113
	.loc	1 153 10                        ; attention_bwd.py:153:10
	s_addc_u32 s7, s39, s5
	.loc	1 171 38                        ; attention_bwd.py:171:38
	v_mul_lo_u32 v0, s24, v0
	.loc	1 171 58 is_stmt 0              ; attention_bwd.py:171:58
	v_or_b32_e32 v1, v183, v1
	.loc	1 154 10 is_stmt 1              ; attention_bwd.py:154:10
	s_add_u32 s14, s40, s4
	.loc	1 171 58                        ; attention_bwd.py:171:58
	v_or_b32_e32 v35, 1, v1
	v_or_b32_e32 v37, 2, v1
	;; [unrolled: 1-line block ×15, first 2 shown]
	.loc	1 171 69 is_stmt 0              ; attention_bwd.py:171:69
	v_mul_lo_u32 v34, s25, v1
	.loc	1 204 19 is_stmt 1              ; attention_bwd.py:204:19
	v_ashrrev_i32_e32 v1, 31, v0
	.loc	1 154 10                        ; attention_bwd.py:154:10
	s_addc_u32 s15, s41, s5
	.loc	1 204 19                        ; attention_bwd.py:204:19
	v_lshlrev_b64 v[64:65], 1, v[0:1]
	.loc	1 171 69                        ; attention_bwd.py:171:69
	v_mul_lo_u32 v36, s25, v35
	.loc	1 204 19                        ; attention_bwd.py:204:19
	v_mov_b32_e32 v0, s15
	v_add_co_u32_e32 v96, vcc, s14, v64
	.loc	1 204 50 is_stmt 0              ; attention_bwd.py:204:50
	v_ashrrev_i32_e32 v35, 31, v34
	.loc	1 204 19                        ; attention_bwd.py:204:19
	v_addc_co_u32_e32 v97, vcc, v0, v65, vcc
	.loc	1 204 50                        ; attention_bwd.py:204:50
	v_lshlrev_b64 v[66:67], 1, v[34:35]
	.loc	1 171 69 is_stmt 1              ; attention_bwd.py:171:69
	v_mul_lo_u32 v38, s25, v37
	.loc	1 204 50                        ; attention_bwd.py:204:50
	v_add_co_u32_e32 v0, vcc, v96, v66
	v_ashrrev_i32_e32 v37, 31, v36
	v_addc_co_u32_e32 v1, vcc, v97, v67, vcc
	v_lshlrev_b64 v[34:35], 1, v[36:37]
	.loc	1 171 69                        ; attention_bwd.py:171:69
	v_mul_lo_u32 v40, s25, v39
	.loc	1 204 50                        ; attention_bwd.py:204:50
	v_add_co_u32_e32 v36, vcc, v96, v34
	v_ashrrev_i32_e32 v39, 31, v38
	v_addc_co_u32_e32 v37, vcc, v97, v35, vcc
	v_lshlrev_b64 v[38:39], 1, v[38:39]
	.loc	1 171 69                        ; attention_bwd.py:171:69
	;; [unrolled: 7-line block ×13, first 2 shown]
	v_mul_lo_u32 v74, s25, v63
	.loc	1 204 50                        ; attention_bwd.py:204:50
	v_add_co_u32_e32 v92, vcc, v96, v60
	v_ashrrev_i32_e32 v63, 31, v62
	v_addc_co_u32_e32 v93, vcc, v97, v61, vcc
	v_lshlrev_b64 v[62:63], 1, v[62:63]
	v_add_co_u32_e32 v94, vcc, v96, v62
	v_ashrrev_i32_e32 v75, 31, v74
	.loc	1 205 22                        ; attention_bwd.py:205:22
	v_cvt_f16_f32_e32 v2, v2
	.loc	1 204 50                        ; attention_bwd.py:204:50
	v_addc_co_u32_e32 v95, vcc, v97, v63, vcc
	v_lshlrev_b64 v[74:75], 1, v[74:75]
	.loc	1 205 22                        ; attention_bwd.py:205:22
	v_cvt_f16_f32_e32 v3, v3
	.loc	1 204 50                        ; attention_bwd.py:204:50
	v_add_co_u32_e32 v96, vcc, v96, v74
	.loc	1 205 22                        ; attention_bwd.py:205:22
	v_cvt_f16_f32_e32 v4, v4
	.loc	1 204 50                        ; attention_bwd.py:204:50
	v_addc_co_u32_e32 v97, vcc, v97, v75, vcc
	.loc	1 205 22                        ; attention_bwd.py:205:22
	v_cvt_f16_f32_e32 v5, v5
	v_cvt_f16_f32_e32 v6, v6
	;; [unrolled: 1-line block ×13, first 2 shown]
	global_store_short v[0:1], v2, off
	global_store_short v[36:37], v3, off
	global_store_short v[76:77], v4, off
	global_store_short v[78:79], v5, off
	global_store_short v[42:43], v6, off
	global_store_short v[80:81], v7, off
	global_store_short v[82:83], v8, off
	global_store_short v[84:85], v9, off
	global_store_short v[50:51], v10, off
	global_store_short v[86:87], v11, off
	global_store_short v[88:89], v12, off
	global_store_short v[90:91], v13, off
	global_store_short v[58:59], v14, off
	global_store_short v[92:93], v15, off
	global_store_short v[94:95], v16, off
	global_store_short v[96:97], v17, off
	.loc	1 209 19                        ; attention_bwd.py:209:19
	v_mov_b32_e32 v0, s7
	v_add_co_u32_e32 v50, vcc, s6, v64
	v_addc_co_u32_e32 v51, vcc, v0, v65, vcc
	.loc	1 209 50 is_stmt 0              ; attention_bwd.py:209:50
	v_add_co_u32_e32 v0, vcc, v50, v66
	v_addc_co_u32_e32 v1, vcc, v51, v67, vcc
	v_add_co_u32_e32 v2, vcc, v50, v34
	v_addc_co_u32_e32 v3, vcc, v51, v35, vcc
	;; [unrolled: 2-line block ×16, first 2 shown]
	.loc	1 210 22 is_stmt 1              ; attention_bwd.py:210:22
	v_fma_mixlo_f16 v18, s12, v18, 0
	v_fma_mixlo_f16 v19, s12, v19, 0
	;; [unrolled: 1-line block ×16, first 2 shown]
	global_store_short v[0:1], v18, off
	global_store_short v[2:3], v19, off
	;; [unrolled: 1-line block ×16, first 2 shown]
	.loc	1 220 20                        ; attention_bwd.py:220:20
	v_mov_b32_e32 v0, s48
	v_add_co_u32_e32 v1, vcc, s35, v136
	v_addc_co_u32_e32 v2, vcc, v0, v137, vcc
	v_add_co_u32_e32 v3, vcc, s35, v138
	v_addc_co_u32_e32 v4, vcc, v0, v139, vcc
	;; [unrolled: 2-line block ×16, first 2 shown]
	.loc	1 220 51 is_stmt 0              ; attention_bwd.py:220:51
	v_add_co_u32_e32 v0, vcc, v1, v150
	v_addc_co_u32_e32 v1, vcc, v2, v151, vcc
	v_add_co_u32_e32 v2, vcc, v3, v150
	v_addc_co_u32_e32 v3, vcc, v4, v151, vcc
	v_add_co_u32_e32 v4, vcc, v5, v150
	v_addc_co_u32_e32 v5, vcc, v6, v151, vcc
	v_add_co_u32_e32 v6, vcc, v7, v150
	v_addc_co_u32_e32 v7, vcc, v8, v151, vcc
	v_add_co_u32_e32 v8, vcc, v9, v150
	v_addc_co_u32_e32 v9, vcc, v10, v151, vcc
	v_add_co_u32_e32 v10, vcc, v11, v150
	v_addc_co_u32_e32 v11, vcc, v12, v151, vcc
	v_add_co_u32_e32 v12, vcc, v13, v150
	v_addc_co_u32_e32 v13, vcc, v14, v151, vcc
	v_add_co_u32_e32 v14, vcc, v15, v150
	v_addc_co_u32_e32 v15, vcc, v16, v151, vcc
	v_add_co_u32_e32 v16, vcc, v17, v150
	v_addc_co_u32_e32 v17, vcc, v18, v151, vcc
	v_add_co_u32_e32 v18, vcc, v19, v150
	v_addc_co_u32_e32 v19, vcc, v20, v151, vcc
	v_add_co_u32_e32 v20, vcc, v21, v150
	v_addc_co_u32_e32 v21, vcc, v22, v151, vcc
	v_add_co_u32_e32 v22, vcc, v23, v150
	v_addc_co_u32_e32 v23, vcc, v24, v151, vcc
	v_add_co_u32_e32 v24, vcc, v25, v150
	v_addc_co_u32_e32 v25, vcc, v26, v151, vcc
	v_add_co_u32_e32 v26, vcc, v27, v150
	v_addc_co_u32_e32 v27, vcc, v28, v151, vcc
	v_add_co_u32_e32 v28, vcc, v29, v150
	v_addc_co_u32_e32 v29, vcc, v30, v151, vcc
	v_add_co_u32_e32 v30, vcc, v31, v150
	v_addc_co_u32_e32 v31, vcc, v32, v151, vcc
	.loc	1 220 16                        ; attention_bwd.py:220:16
	global_load_ushort v32, v[0:1], off
	global_load_ushort v33, v[8:9], off
	;; [unrolled: 1-line block ×8, first 2 shown]
                                        ; kill: killed $vgpr24 killed $vgpr25
                                        ; kill: killed $vgpr10 killed $vgpr11
                                        ; kill: killed $vgpr16 killed $vgpr17
                                        ; kill: killed $vgpr2 killed $vgpr3
                                        ; kill: killed $vgpr26 killed $vgpr27
                                        ; kill: killed $vgpr8 killed $vgpr9
                                        ; kill: killed $vgpr18 killed $vgpr19
                                        ; kill: killed $vgpr0 killed $vgpr1
	global_load_ushort v0, v[4:5], off
	global_load_ushort v1, v[12:13], off
	global_load_ushort v2, v[20:21], off
	global_load_ushort v3, v[28:29], off
	s_nop 0
	global_load_ushort v4, v[6:7], off
	global_load_ushort v5, v[14:15], off
	;; [unrolled: 1-line block ×4, first 2 shown]
	s_waitcnt lgkmcnt(0)
	s_barrier
	s_waitcnt vmcnt(15)
	ds_write_b16 v204, v32
	s_waitcnt vmcnt(14)
	ds_write_b16 v204, v33 offset:4096
	s_waitcnt vmcnt(13)
	ds_write_b16 v204, v34 offset:8192
	;; [unrolled: 2-line block ×15, first 2 shown]
	.loc	1 222 22 is_stmt 1              ; attention_bwd.py:222:22
	v_mov_b32_e32 v0, s34
	v_add_co_u32_e32 v1, vcc, s33, v136
	v_addc_co_u32_e32 v2, vcc, v0, v137, vcc
	v_add_co_u32_e32 v3, vcc, s33, v138
	v_addc_co_u32_e32 v4, vcc, v0, v139, vcc
	v_add_co_u32_e32 v5, vcc, s33, v140
	v_addc_co_u32_e32 v6, vcc, v0, v141, vcc
	v_add_co_u32_e32 v7, vcc, s33, v142
	v_addc_co_u32_e32 v8, vcc, v0, v143, vcc
	v_add_co_u32_e32 v9, vcc, s33, v144
	v_addc_co_u32_e32 v10, vcc, v0, v145, vcc
	v_add_co_u32_e32 v11, vcc, s33, v184
	v_addc_co_u32_e32 v12, vcc, v0, v185, vcc
	v_add_co_u32_e32 v13, vcc, s33, v186
	v_addc_co_u32_e32 v14, vcc, v0, v187, vcc
	v_add_co_u32_e32 v15, vcc, s33, v188
	v_addc_co_u32_e32 v16, vcc, v0, v189, vcc
	v_add_co_u32_e32 v17, vcc, s33, v190
	v_addc_co_u32_e32 v18, vcc, v0, v191, vcc
	v_add_co_u32_e32 v19, vcc, s33, v196
	v_addc_co_u32_e32 v20, vcc, v0, v197, vcc
	v_add_co_u32_e32 v21, vcc, s33, v198
	v_addc_co_u32_e32 v22, vcc, v0, v199, vcc
	v_add_co_u32_e32 v23, vcc, s33, v200
	v_addc_co_u32_e32 v24, vcc, v0, v201, vcc
	v_add_co_u32_e32 v25, vcc, s33, v202
	v_addc_co_u32_e32 v26, vcc, v0, v203, vcc
	v_add_co_u32_e32 v27, vcc, s33, v208
	v_addc_co_u32_e32 v28, vcc, v0, v209, vcc
	v_add_co_u32_e32 v29, vcc, s33, v210
	v_addc_co_u32_e32 v30, vcc, v0, v211, vcc
	v_add_co_u32_e32 v31, vcc, s33, v212
	v_addc_co_u32_e32 v32, vcc, v0, v213, vcc
	.loc	1 222 53 is_stmt 0              ; attention_bwd.py:222:53
	v_add_co_u32_e32 v0, vcc, v1, v150
	v_addc_co_u32_e32 v1, vcc, v2, v151, vcc
	v_add_co_u32_e32 v2, vcc, v3, v150
	v_addc_co_u32_e32 v3, vcc, v4, v151, vcc
	v_add_co_u32_e32 v4, vcc, v5, v150
	v_addc_co_u32_e32 v5, vcc, v6, v151, vcc
	v_add_co_u32_e32 v6, vcc, v7, v150
	v_addc_co_u32_e32 v7, vcc, v8, v151, vcc
	v_add_co_u32_e32 v8, vcc, v9, v150
	v_addc_co_u32_e32 v9, vcc, v10, v151, vcc
	v_add_co_u32_e32 v10, vcc, v11, v150
	v_addc_co_u32_e32 v11, vcc, v12, v151, vcc
	v_add_co_u32_e32 v12, vcc, v13, v150
	v_addc_co_u32_e32 v13, vcc, v14, v151, vcc
	v_add_co_u32_e32 v14, vcc, v15, v150
	v_addc_co_u32_e32 v15, vcc, v16, v151, vcc
	v_add_co_u32_e32 v16, vcc, v17, v150
	v_addc_co_u32_e32 v17, vcc, v18, v151, vcc
	v_add_co_u32_e32 v18, vcc, v19, v150
	v_addc_co_u32_e32 v19, vcc, v20, v151, vcc
	v_add_co_u32_e32 v20, vcc, v21, v150
	v_addc_co_u32_e32 v21, vcc, v22, v151, vcc
	v_add_co_u32_e32 v22, vcc, v23, v150
	v_addc_co_u32_e32 v23, vcc, v24, v151, vcc
	v_add_co_u32_e32 v24, vcc, v25, v150
	v_addc_co_u32_e32 v25, vcc, v26, v151, vcc
	v_add_co_u32_e32 v26, vcc, v27, v150
	v_addc_co_u32_e32 v27, vcc, v28, v151, vcc
	v_add_co_u32_e32 v28, vcc, v29, v150
	v_addc_co_u32_e32 v29, vcc, v30, v151, vcc
	v_add_co_u32_e32 v30, vcc, v31, v150
	.loc	1 220 16 is_stmt 1              ; attention_bwd.py:220:16
	s_waitcnt lgkmcnt(0)
	s_barrier
	.loc	1 222 53                        ; attention_bwd.py:222:53
	v_addc_co_u32_e32 v31, vcc, v32, v151, vcc
	.loc	1 222 17 is_stmt 0              ; attention_bwd.py:222:17
	global_load_ushort v74, v[0:1], off
	global_load_ushort v75, v[8:9], off
	global_load_ushort v76, v[16:17], off
	global_load_ushort v77, v[24:25], off
	global_load_ushort v78, v[2:3], off
	global_load_ushort v79, v[10:11], off
	global_load_ushort v80, v[18:19], off
	global_load_ushort v81, v[26:27], off
	global_load_ushort v82, v[4:5], off
	global_load_ushort v83, v[12:13], off
	global_load_ushort v84, v[20:21], off
	global_load_ushort v85, v[28:29], off
	global_load_ushort v86, v[6:7], off
	global_load_ushort v87, v[14:15], off
	global_load_ushort v88, v[22:23], off
                                        ; kill: killed $vgpr12 killed $vgpr13
                                        ; kill: killed $vgpr22 killed $vgpr23
                                        ; kill: killed $vgpr8 killed $vgpr9
                                        ; kill: killed $vgpr18 killed $vgpr19
                                        ; kill: killed $vgpr4 killed $vgpr5
                                        ; kill: killed $vgpr28 killed $vgpr29
                                        ; kill: killed $vgpr14 killed $vgpr15
                                        ; kill: killed $vgpr0 killed $vgpr1
                                        ; kill: killed $vgpr24 killed $vgpr25
                                        ; kill: killed $vgpr10 killed $vgpr11
                                        ; kill: killed $vgpr20 killed $vgpr21
                                        ; kill: killed $vgpr6 killed $vgpr7
                                        ; kill: killed $vgpr16 killed $vgpr17
                                        ; kill: killed $vgpr2 killed $vgpr3
                                        ; kill: killed $vgpr26 killed $vgpr27
	global_load_ushort v0, v[30:31], off
	.loc	1 220 16 is_stmt 1              ; attention_bwd.py:220:16
	ds_read2_b64 v[32:35], v224 offset1:16
	ds_read2_b64 v[36:39], v221 offset1:16
	;; [unrolled: 1-line block ×8, first 2 shown]
.Ltmp26:
	.loc	1 101 25                        ; attention_bwd.py:101:25 @[ attention_bwd.py:253:40 ]
	s_and_b64 vcc, exec, s[2:3]
.Ltmp27:
	.loc	1 222 17                        ; attention_bwd.py:222:17
	s_waitcnt lgkmcnt(0)
	s_barrier
	s_waitcnt vmcnt(15)
	ds_write_b16 v204, v74
	s_waitcnt vmcnt(14)
	ds_write_b16 v204, v75 offset:4096
	s_waitcnt vmcnt(13)
	ds_write_b16 v204, v76 offset:8192
	;; [unrolled: 2-line block ×15, first 2 shown]
	s_waitcnt lgkmcnt(0)
	s_barrier
.Ltmp28:
	.loc	1 101 25                        ; attention_bwd.py:101:25 @[ attention_bwd.py:253:40 ]
	s_cbranch_vccnz .LBB0_52
.Ltmp29:
; %bb.49:                               ; %.lr.ph245
	.loc	1 165 36                        ; attention_bwd.py:165:36
	v_lshrrev_b32_e32 v0, 1, v215
	.loc	1 0 0 is_stmt 0                 ; attention_bwd.py:0
	v_add_u32_e32 v1, 0x80, v224
	.loc	1 165 23                        ; attention_bwd.py:165:23
	v_or3_b32 v0, v216, v0, s26
	.loc	1 0 0                           ; attention_bwd.py:0
	v_add_u32_e32 v2, 0x80, v221
	v_add_u32_e32 v3, 0x80, v222
	;; [unrolled: 1-line block ×7, first 2 shown]
	.loc	1 222 17 is_stmt 1              ; attention_bwd.py:222:17
	ds_read_b64 v[122:123], v224
	ds_read_b64 v[124:125], v221
	;; [unrolled: 1-line block ×16, first 2 shown]
	.loc	1 224 20                        ; attention_bwd.py:224:20
	v_ashrrev_i32_e32 v1, 31, v0
	v_lshlrev_b64 v[0:1], 2, v[0:1]
	v_mov_b32_e32 v3, s23
	v_add_co_u32_e32 v2, vcc, s44, v0
	v_addc_co_u32_e32 v3, vcc, v3, v1, vcc
	.loc	1 224 16 is_stmt 0              ; attention_bwd.py:224:16
	global_load_dword v108, v[2:3], off
.Ltmp30:
	.loc	1 96 21 is_stmt 1               ; attention_bwd.py:96:21 @[ attention_bwd.py:253:40 ]
	v_mov_b32_e32 v2, s22
	v_add_co_u32_e32 v0, vcc, s28, v0
	v_addc_co_u32_e32 v1, vcc, v2, v1, vcc
	.loc	1 96 17 is_stmt 0               ; attention_bwd.py:96:17 @[ attention_bwd.py:253:40 ]
	global_load_dword v109, v[0:1], off
	v_and_b32_e32 v0, 0x78, v225
	v_and_b32_e32 v4, 0x108, v228
	v_mov_b32_e32 v5, 0x220
	v_lshlrev_b32_e32 v1, 11, v182
	v_lshlrev_b32_e32 v2, 6, v215
	v_cndmask_b32_e64 v5, v5, 0, s[0:1]
	s_movk_i32 s0, 0x800
	v_xor_b32_e32 v0, v4, v0
	v_and_or_b32 v2, v1, s0, v2
	v_xor_b32_e32 v0, v0, v5
	v_and_b32_e32 v5, 0x64, v225
	v_and_b32_e32 v1, 0x1000, v1
	v_or3_b32 v2, v0, v2, v183
	v_and_b32_e32 v0, 0x600, v111
	v_and_b32_e32 v6, 0x108, v175
	v_or3_b32 v1, v232, v1, v5
	v_and_b32_e32 v3, 0x80, v182
	v_or3_b32 v0, v1, v0, v6
	v_or3_b32 v1, v0, v3, v214
	.loc	1 101 25 is_stmt 1              ; attention_bwd.py:101:25 @[ attention_bwd.py:253:40 ]
	v_add_co_u32_e32 v0, vcc, v244, v234
	v_addc_co_u32_e32 v11, vcc, v245, v235, vcc
	v_mov_b32_e32 v12, s11
	v_add_co_u32_e32 v74, vcc, s10, v0
	v_addc_co_u32_e32 v75, vcc, v12, v11, vcc
	v_add_co_u32_e32 v12, vcc, v242, v234
	v_addc_co_u32_e32 v13, vcc, v243, v235, vcc
	v_mov_b32_e32 v14, s11
	v_add_co_u32_e32 v76, vcc, s10, v12
	v_addc_co_u32_e32 v77, vcc, v14, v13, vcc
	;; [unrolled: 5-line block ×8, first 2 shown]
	v_mov_b32_e32 v26, s9
	v_add_co_u32_e32 v90, vcc, s8, v0
	v_addc_co_u32_e32 v91, vcc, v26, v11, vcc
	v_mov_b32_e32 v0, s9
	v_add_co_u32_e32 v92, vcc, s8, v12
	v_addc_co_u32_e32 v93, vcc, v0, v13, vcc
	v_add_co_u32_e32 v94, vcc, s8, v14
	v_addc_co_u32_e32 v95, vcc, v0, v15, vcc
	;; [unrolled: 2-line block ×6, first 2 shown]
	v_xor_b32_e32 v4, 64, v2
	v_add_co_u32_e32 v104, vcc, s8, v24
	v_xor_b32_e32 v3, 8, v1
	v_xor_b32_e32 v5, 32, v1
	;; [unrolled: 1-line block ×7, first 2 shown]
	s_ashr_i32 s17, s16, 31
	v_addc_co_u32_e32 v105, vcc, v0, v25, vcc
	v_mov_b32_e32 v0, 0
	v_add_u32_e32 v110, 0, v2
	v_add_u32_e32 v2, 0, v4
	s_lshl_b64 s[0:1], s[16:17], 1
	s_mov_b32 s2, 0x5040100
	v_add_u32_e32 v111, 0, v1
	v_add_u32_e32 v112, 0, v3
	;; [unrolled: 1-line block ×9, first 2 shown]
	v_mov_b32_e32 v1, v0
	v_mov_b32_e32 v2, v0
	;; [unrolled: 1-line block ×15, first 2 shown]
.LBB0_50:                               ; =>This Inner Loop Header: Depth=1
	.loc	1 102 21                        ; attention_bwd.py:102:21 @[ attention_bwd.py:253:40 ]
	v_add_co_u32_e32 v16, vcc, s4, v74
	v_mov_b32_e32 v169, s5
	v_addc_co_u32_e32 v17, vcc, v75, v169, vcc
	v_add_co_u32_e32 v18, vcc, s4, v76
	v_addc_co_u32_e32 v19, vcc, v77, v169, vcc
	v_add_co_u32_e32 v20, vcc, s4, v78
	;; [unrolled: 2-line block ×15, first 2 shown]
	v_addc_co_u32_e32 v169, vcc, v105, v169, vcc
	global_load_ushort v168, v[168:169], off
	s_nop 0
	global_load_ushort v166, v[166:167], off
	s_nop 0
	;; [unrolled: 2-line block ×7, first 2 shown]
	global_load_ushort v154, v[154:155], off
	.loc	1 117 34                        ; attention_bwd.py:117:34 @[ attention_bwd.py:253:40 ]
	s_waitcnt lgkmcnt(0)
	s_barrier
	.loc	1 101 25                        ; attention_bwd.py:101:25 @[ attention_bwd.py:253:40 ]
	v_add_co_u32_e32 v74, vcc, s0, v74
	s_add_i32 s13, s13, -1
	s_cmp_lg_u32 s13, 0
	.loc	1 117 34                        ; attention_bwd.py:117:34 @[ attention_bwd.py:253:40 ]
	s_waitcnt vmcnt(5)
	v_perm_b32 v155, v164, v168, s2
	s_waitcnt vmcnt(1)
	v_perm_b32 v157, v156, v160, s2
	ds_write2_b32 v110, v155, v157 offset1:32
	v_perm_b32 v155, v162, v166, s2
	s_waitcnt vmcnt(0)
	v_perm_b32 v157, v154, v158, s2
	ds_write2_b32 v121, v155, v157 offset1:32
	s_waitcnt lgkmcnt(0)
	s_barrier
	ds_read_u16 v186, v111
	ds_read_u16 v187, v111 offset:2048
	ds_read_u16 v188, v112
	ds_read_u16 v189, v112 offset:2048
	;; [unrolled: 2-line block ×8, first 2 shown]
	.loc	1 103 21                        ; attention_bwd.py:103:21 @[ attention_bwd.py:253:40 ]
	global_load_ushort v226, v[30:31], off
	global_load_ushort v227, v[28:29], off
	;; [unrolled: 1-line block ×8, first 2 shown]
	.loc	1 102 21                        ; attention_bwd.py:102:21 @[ attention_bwd.py:253:40 ]
	s_waitcnt lgkmcnt(0)
	s_barrier
	ds_write_b16 v114, v168
	ds_write_b16 v114, v166 offset:1024
	ds_write_b16 v114, v164 offset:2048
	;; [unrolled: 1-line block ×7, first 2 shown]
	s_waitcnt lgkmcnt(0)
	s_barrier
	ds_read_u16 v16, v115
	ds_read_u16 v17, v115 offset:64
	ds_read_u16 v18, v115 offset:128
	;; [unrolled: 1-line block ×63, first 2 shown]
	.loc	1 104 23                        ; attention_bwd.py:104:23 @[ attention_bwd.py:253:40 ]
	s_waitcnt lgkmcnt(14)
	v_perm_b32 v155, v19, v18, s2
	v_perm_b32 v154, v17, v16, s2
	;; [unrolled: 1-line block ×8, first 2 shown]
	v_mfma_f32_32x32x8f16 v[16:31], v[154:155], v[32:33], 0
	v_perm_b32 v163, v165, v163, s2
	v_perm_b32 v162, v164, v162, s2
	;; [unrolled: 1-line block ×15, first 2 shown]
	v_mfma_f32_32x32x8f16 v[16:31], v[156:157], v[36:37], v[16:31]
	v_perm_b32 v176, v207, v206, s2
	s_waitcnt lgkmcnt(12)
	v_perm_b32 v179, v213, v212, s2
	v_perm_b32 v178, v211, v210, s2
	s_waitcnt lgkmcnt(8)
	v_perm_b32 v181, v217, v216, s2
	;; [unrolled: 3-line block ×4, first 2 shown]
	v_perm_b32 v184, v223, v222, s2
	.loc	1 103 21                        ; attention_bwd.py:103:21 @[ attention_bwd.py:253:40 ]
	s_waitcnt lgkmcnt(0)
	s_barrier
	s_waitcnt vmcnt(7)
	ds_write_b16 v114, v226
	s_waitcnt vmcnt(6)
	ds_write_b16 v114, v227 offset:1024
	s_waitcnt vmcnt(5)
	ds_write_b16 v114, v228 offset:2048
	;; [unrolled: 2-line block ×7, first 2 shown]
	.loc	1 104 23                        ; attention_bwd.py:104:23 @[ attention_bwd.py:253:40 ]
	v_mfma_f32_32x32x8f16 v[16:31], v[158:159], v[40:41], v[16:31]
	.loc	1 103 21                        ; attention_bwd.py:103:21 @[ attention_bwd.py:253:40 ]
	s_waitcnt lgkmcnt(0)
	s_barrier
	.loc	1 104 23                        ; attention_bwd.py:104:23 @[ attention_bwd.py:253:40 ]
	v_mfma_f32_32x32x8f16 v[16:31], v[160:161], v[44:45], v[16:31]
	v_mfma_f32_32x32x8f16 v[16:31], v[162:163], v[48:49], v[16:31]
	;; [unrolled: 1-line block ×13, first 2 shown]
	.loc	1 105 30                        ; attention_bwd.py:105:30 @[ attention_bwd.py:253:40 ]
	s_nop 15
	s_nop 2
	v_sub_f32_e32 v16, v16, v108
	v_sub_f32_e32 v17, v17, v108
	;; [unrolled: 1-line block ×16, first 2 shown]
	.loc	1 105 25 is_stmt 0              ; attention_bwd.py:105:25 @[ attention_bwd.py:253:40 ]
	v_exp_f32_e32 v202, v16
	v_exp_f32_e32 v203, v17
	;; [unrolled: 1-line block ×16, first 2 shown]
	.loc	1 103 21 is_stmt 1              ; attention_bwd.py:103:21 @[ attention_bwd.py:253:40 ]
	ds_read_u16 v16, v115
	ds_read_u16 v17, v115 offset:64
	ds_read_u16 v18, v115 offset:128
	ds_read_u16 v19, v115 offset:192
	ds_read_u16 v20, v115 offset:512
	ds_read_u16 v21, v115 offset:576
	ds_read_u16 v22, v115 offset:640
	ds_read_u16 v23, v115 offset:704
	ds_read_u16 v24, v115 offset:1024
	ds_read_u16 v25, v115 offset:1088
	ds_read_u16 v26, v115 offset:1152
	ds_read_u16 v27, v115 offset:1216
	ds_read_u16 v28, v115 offset:1536
	ds_read_u16 v29, v115 offset:1600
	ds_read_u16 v30, v115 offset:1664
	ds_read_u16 v31, v115 offset:1728
	ds_read_u16 v162, v115 offset:2048
	ds_read_u16 v164, v115 offset:2112
	ds_read_u16 v163, v115 offset:2176
	ds_read_u16 v165, v115 offset:2240
	ds_read_u16 v166, v115 offset:2560
	ds_read_u16 v167, v115 offset:2624
	ds_read_u16 v168, v115 offset:2688
	ds_read_u16 v169, v115 offset:2752
	ds_read_u16 v170, v115 offset:3072
	ds_read_u16 v171, v115 offset:3136
	ds_read_u16 v172, v115 offset:3200
	ds_read_u16 v173, v115 offset:3264
	ds_read_u16 v174, v115 offset:3584
	ds_read_u16 v175, v115 offset:3648
	ds_read_u16 v176, v115 offset:3712
	ds_read_u16 v177, v115 offset:3776
	ds_read_u16 v178, v115 offset:4096
	ds_read_u16 v179, v115 offset:4160
	ds_read_u16 v180, v115 offset:4224
	ds_read_u16 v181, v115 offset:4288
	ds_read_u16 v182, v115 offset:4608
	ds_read_u16 v183, v115 offset:4672
	ds_read_u16 v184, v115 offset:4736
	ds_read_u16 v185, v115 offset:4800
	ds_read_u16 v218, v115 offset:5120
	ds_read_u16 v219, v115 offset:5184
	ds_read_u16 v220, v115 offset:5248
	ds_read_u16 v221, v115 offset:5312
	ds_read_u16 v222, v115 offset:5632
	ds_read_u16 v223, v115 offset:5696
	ds_read_u16 v224, v115 offset:5760
	ds_read_u16 v225, v115 offset:5824
	ds_read_u16 v226, v115 offset:6144
	ds_read_u16 v227, v115 offset:6208
	ds_read_u16 v228, v115 offset:6272
	ds_read_u16 v229, v115 offset:6336
	ds_read_u16 v230, v115 offset:6656
	ds_read_u16 v231, v115 offset:6720
	ds_read_u16 v232, v115 offset:6784
	ds_read_u16 v233, v115 offset:6848
	ds_read_u16 v234, v115 offset:7168
	ds_read_u16 v235, v115 offset:7232
	ds_read_u16 v236, v115 offset:7296
	ds_read_u16 v237, v115 offset:7360
	ds_read_u16 v238, v115 offset:7680
	ds_read_u16 v239, v115 offset:7744
	ds_read_u16 v240, v115 offset:7808
	ds_read_u16 v241, v115 offset:7872
	.loc	1 112 24                        ; attention_bwd.py:112:24 @[ attention_bwd.py:253:40 ]
	s_waitcnt lgkmcnt(14)
	v_perm_b32 v155, v19, v18, s2
	v_perm_b32 v154, v17, v16, s2
	;; [unrolled: 1-line block ×8, first 2 shown]
	v_mfma_f32_32x32x8f16 v[16:31], v[154:155], v[122:123], 0
	v_perm_b32 v163, v165, v163, s2
	v_perm_b32 v162, v164, v162, s2
	;; [unrolled: 1-line block ×15, first 2 shown]
	v_mfma_f32_32x32x8f16 v[16:31], v[156:157], v[124:125], v[16:31]
	v_perm_b32 v176, v223, v222, s2
	s_waitcnt lgkmcnt(12)
	v_perm_b32 v179, v229, v228, s2
	v_perm_b32 v178, v227, v226, s2
	s_waitcnt lgkmcnt(8)
	v_perm_b32 v181, v233, v232, s2
	;; [unrolled: 3-line block ×4, first 2 shown]
	v_perm_b32 v184, v239, v238, s2
	.loc	1 114 19                        ; attention_bwd.py:114:19 @[ attention_bwd.py:253:40 ]
	s_waitcnt lgkmcnt(0)
	s_barrier
	.loc	1 112 24                        ; attention_bwd.py:112:24 @[ attention_bwd.py:253:40 ]
	v_mfma_f32_32x32x8f16 v[16:31], v[158:159], v[126:127], v[16:31]
	v_mfma_f32_32x32x8f16 v[16:31], v[160:161], v[128:129], v[16:31]
	;; [unrolled: 1-line block ×14, first 2 shown]
	.loc	1 113 23                        ; attention_bwd.py:113:23 @[ attention_bwd.py:253:40 ]
	s_nop 15
	s_nop 2
	v_sub_f32_e32 v16, v16, v109
	v_sub_f32_e32 v17, v17, v109
	;; [unrolled: 1-line block ×16, first 2 shown]
	.loc	1 114 19                        ; attention_bwd.py:114:19 @[ attention_bwd.py:253:40 ]
	v_fma_mixlo_f16 v16, v202, v16, 0
	v_fma_mixlo_f16 v17, v203, v17, 0
	;; [unrolled: 1-line block ×16, first 2 shown]
	ds_write_b16 v106, v16
	ds_write_b16 v106, v17 offset:128
	ds_write_b16 v106, v18 offset:256
	;; [unrolled: 1-line block ×15, first 2 shown]
	s_waitcnt lgkmcnt(0)
	s_barrier
	ds_read_u16 v16, v107
	ds_read_u16 v18, v107 offset:128
	ds_read_u16 v17, v107 offset:256
	ds_read_u16 v19, v107 offset:384
	ds_read_u16 v20, v107 offset:1024
	ds_read_u16 v21, v107 offset:1152
	ds_read_u16 v22, v107 offset:1280
	ds_read_u16 v23, v107 offset:1408
	ds_read_u16 v24, v107 offset:2048
	ds_read_u16 v25, v107 offset:2176
	ds_read_u16 v26, v107 offset:2304
	ds_read_u16 v27, v107 offset:2432
	ds_read_u16 v28, v107 offset:3072
	ds_read_u16 v29, v107 offset:3200
	ds_read_u16 v30, v107 offset:3328
	ds_read_u16 v31, v107 offset:3456
	.loc	1 117 25                        ; attention_bwd.py:117:25 @[ attention_bwd.py:253:40 ]
	s_waitcnt lgkmcnt(14)
	v_perm_b32 v16, v18, v16, s2
	s_waitcnt lgkmcnt(10)
	v_perm_b32 v18, v21, v20, s2
	;; [unrolled: 2-line block ×3, first 2 shown]
	v_perm_b32 v25, v189, v188, s2
	v_perm_b32 v24, v187, v186, s2
	;; [unrolled: 1-line block ×3, first 2 shown]
	s_waitcnt lgkmcnt(4)
	v_perm_b32 v21, v27, v26, s2
	v_perm_b32 v27, v193, v192, s2
	v_mfma_f32_32x32x8f16 v[0:15], v[24:25], v[16:17], v[0:15]
	v_perm_b32 v26, v191, v190, s2
	v_perm_b32 v19, v23, v22, s2
	s_waitcnt lgkmcnt(2)
	v_perm_b32 v22, v29, v28, s2
	v_perm_b32 v29, v197, v196, s2
	;; [unrolled: 1-line block ×3, first 2 shown]
	.loc	1 101 25                        ; attention_bwd.py:101:25 @[ attention_bwd.py:253:40 ]
	v_mov_b32_e32 v16, s1
	v_addc_co_u32_e32 v75, vcc, v75, v16, vcc
	v_add_co_u32_e32 v76, vcc, s0, v76
	v_addc_co_u32_e32 v77, vcc, v77, v16, vcc
	v_add_co_u32_e32 v78, vcc, s0, v78
	v_addc_co_u32_e32 v79, vcc, v79, v16, vcc
	.loc	1 117 25                        ; attention_bwd.py:117:25 @[ attention_bwd.py:253:40 ]
	v_mfma_f32_32x32x8f16 v[0:15], v[26:27], v[18:19], v[0:15]
	.loc	1 101 25                        ; attention_bwd.py:101:25 @[ attention_bwd.py:253:40 ]
	v_add_co_u32_e32 v80, vcc, s0, v80
	v_addc_co_u32_e32 v81, vcc, v81, v16, vcc
	v_add_co_u32_e32 v82, vcc, s0, v82
	v_addc_co_u32_e32 v83, vcc, v83, v16, vcc
	v_add_co_u32_e32 v84, vcc, s0, v84
	.loc	1 117 25                        ; attention_bwd.py:117:25 @[ attention_bwd.py:253:40 ]
	s_waitcnt lgkmcnt(0)
	v_perm_b32 v23, v31, v30, s2
	v_perm_b32 v31, v201, v200, s2
	;; [unrolled: 1-line block ×3, first 2 shown]
	.loc	1 101 25                        ; attention_bwd.py:101:25 @[ attention_bwd.py:253:40 ]
	v_addc_co_u32_e32 v85, vcc, v85, v16, vcc
	.loc	1 117 25                        ; attention_bwd.py:117:25 @[ attention_bwd.py:253:40 ]
	v_mfma_f32_32x32x8f16 v[0:15], v[28:29], v[20:21], v[0:15]
	.loc	1 101 25                        ; attention_bwd.py:101:25 @[ attention_bwd.py:253:40 ]
	v_add_co_u32_e32 v86, vcc, s0, v86
	v_addc_co_u32_e32 v87, vcc, v87, v16, vcc
	v_add_co_u32_e32 v88, vcc, s0, v88
	v_addc_co_u32_e32 v89, vcc, v89, v16, vcc
	;; [unrolled: 2-line block ×4, first 2 shown]
	.loc	1 117 25                        ; attention_bwd.py:117:25 @[ attention_bwd.py:253:40 ]
	v_mfma_f32_32x32x8f16 v[0:15], v[30:31], v[22:23], v[0:15]
	.loc	1 101 25                        ; attention_bwd.py:101:25 @[ attention_bwd.py:253:40 ]
	v_add_co_u32_e32 v94, vcc, s0, v94
	v_addc_co_u32_e32 v95, vcc, v95, v16, vcc
	v_add_co_u32_e32 v96, vcc, s0, v96
	v_addc_co_u32_e32 v97, vcc, v97, v16, vcc
	;; [unrolled: 2-line block ×6, first 2 shown]
	s_cbranch_scc1 .LBB0_50
.Ltmp31:
; %bb.51:                               ; %._crit_edge246.loopexit
	.loc	1 0 25 is_stmt 0                ; attention_bwd.py:0:25
	s_mov_b32 s0, 0x3f317218
	.loc	1 259 22 is_stmt 1              ; attention_bwd.py:259:22
	s_nop 4
	v_fma_mixlo_f16 v23, v0, s0, 0
	v_fma_mixlo_f16 v22, v1, s0, 0
	v_fma_mixlo_f16 v21, v2, s0, 0
	v_fma_mixlo_f16 v20, v3, s0, 0
	v_fma_mixlo_f16 v19, v4, s0, 0
	v_fma_mixlo_f16 v18, v5, s0, 0
	v_fma_mixlo_f16 v17, v6, s0, 0
	v_fma_mixlo_f16 v16, v7, s0, 0
	v_fma_mixlo_f16 v7, v8, s0, 0
	v_fma_mixlo_f16 v6, v9, s0, 0
	v_fma_mixlo_f16 v5, v10, s0, 0
	v_fma_mixlo_f16 v4, v11, s0, 0
	v_fma_mixlo_f16 v3, v12, s0, 0
	v_fma_mixlo_f16 v2, v13, s0, 0
	v_fma_mixlo_f16 v1, v14, s0, 0
	v_fma_mixlo_f16 v0, v15, s0, 0
	s_branch .LBB0_53
.LBB0_52:
	.loc	1 0 22 is_stmt 0                ; attention_bwd.py:0:22
	v_mov_b32_e32 v0, 0
	v_mov_b32_e32 v1, 0
	;; [unrolled: 1-line block ×16, first 2 shown]
.LBB0_53:                               ; %._crit_edge246
	.loc	1 152 10 is_stmt 1              ; attention_bwd.py:152:10
	s_add_u32 s0, s36, s4
	s_addc_u32 s1, s37, s5
	.loc	1 257 19                        ; attention_bwd.py:257:19
	v_mov_b32_e32 v8, s1
	v_add_co_u32_e32 v40, vcc, s0, v64
	v_addc_co_u32_e32 v41, vcc, v8, v65, vcc
	.loc	1 257 50 is_stmt 0              ; attention_bwd.py:257:50
	v_add_co_u32_e32 v8, vcc, v40, v66
	s_ashr_i32 s1, s25, 31
	s_mov_b32 s0, s25
	v_addc_co_u32_e32 v9, vcc, v41, v67, vcc
	s_lshl_b64 s[0:1], s[0:1], 1
	v_mov_b32_e32 v47, s1
	v_add_co_u32_e32 v10, vcc, s0, v8
	v_addc_co_u32_e32 v11, vcc, v9, v47, vcc
	v_add_co_u32_e32 v12, vcc, s0, v10
	v_addc_co_u32_e32 v13, vcc, v11, v47, vcc
	;; [unrolled: 2-line block ×15, first 2 shown]
	.loc	1 259 22 is_stmt 1              ; attention_bwd.py:259:22
	global_store_short v[8:9], v23, off
	global_store_short v[10:11], v22, off
	;; [unrolled: 1-line block ×16, first 2 shown]
	.loc	1 259 4 is_stmt 0               ; attention_bwd.py:259:4
	s_endpgm
.Ltmp32:
	.section	.rodata,"a",@progbits
	.p2align	6, 0x0
	.amdhsa_kernel _attn_bwd
		.amdhsa_group_segment_fixed_size 0
		.amdhsa_private_segment_fixed_size 720
		.amdhsa_kernarg_size 120
		.amdhsa_user_sgpr_count 16
		.amdhsa_user_sgpr_private_segment_buffer 1
		.amdhsa_user_sgpr_dispatch_ptr 0
		.amdhsa_user_sgpr_queue_ptr 0
		.amdhsa_user_sgpr_kernarg_segment_ptr 1
		.amdhsa_user_sgpr_dispatch_id 0
		.amdhsa_user_sgpr_flat_scratch_init 0
		.amdhsa_user_sgpr_kernarg_preload_length 10
		.amdhsa_user_sgpr_kernarg_preload_offset 0
		.amdhsa_user_sgpr_private_segment_size 0
		.amdhsa_uses_dynamic_stack 0
		.amdhsa_system_sgpr_private_segment_wavefront_offset 1
		.amdhsa_system_sgpr_workgroup_id_x 1
		.amdhsa_system_sgpr_workgroup_id_y 0
		.amdhsa_system_sgpr_workgroup_id_z 1
		.amdhsa_system_sgpr_workgroup_info 0
		.amdhsa_system_vgpr_workitem_id 0
		.amdhsa_next_free_vgpr 256
		.amdhsa_next_free_sgpr 56
		.amdhsa_accum_offset 256
		.amdhsa_reserve_vcc 1
		.amdhsa_reserve_flat_scratch 0
		.amdhsa_reserve_xnack_mask 1
		.amdhsa_float_round_mode_32 0
		.amdhsa_float_round_mode_16_64 0
		.amdhsa_float_denorm_mode_32 3
		.amdhsa_float_denorm_mode_16_64 3
		.amdhsa_dx10_clamp 1
		.amdhsa_ieee_mode 1
		.amdhsa_fp16_overflow 0
		.amdhsa_tg_split 0
		.amdhsa_exception_fp_ieee_invalid_op 0
		.amdhsa_exception_fp_denorm_src 0
		.amdhsa_exception_fp_ieee_div_zero 0
		.amdhsa_exception_fp_ieee_overflow 0
		.amdhsa_exception_fp_ieee_underflow 0
		.amdhsa_exception_fp_ieee_inexact 0
		.amdhsa_exception_int_div_zero 0
	.end_amdhsa_kernel
	.text
.Lfunc_end0:
	.size	_attn_bwd, .Lfunc_end0-_attn_bwd
	.cfi_endproc
                                        ; -- End function
	.set _attn_bwd.num_vgpr, 256
	.set _attn_bwd.num_agpr, 0
	.set _attn_bwd.numbered_sgpr, 56
	.set _attn_bwd.num_named_barrier, 0
	.set _attn_bwd.private_seg_size, 720
	.set _attn_bwd.uses_vcc, 1
	.set _attn_bwd.uses_flat_scratch, 0
	.set _attn_bwd.has_dyn_sized_stack, 0
	.set _attn_bwd.has_recursion, 0
	.set _attn_bwd.has_indirect_call, 0
	.section	.AMDGPU.csdata,"",@progbits
; Kernel info:
; codeLenInByte = 25040
; TotalNumSgprs: 60
; NumVgprs: 256
; NumAgprs: 0
; TotalNumVgprs: 256
; ScratchSize: 720
; MemoryBound: 0
; FloatMode: 240
; IeeeMode: 1
; LDSByteSize: 0 bytes/workgroup (compile time only)
; SGPRBlocks: 7
; VGPRBlocks: 31
; NumSGPRsForWavesPerEU: 60
; NumVGPRsForWavesPerEU: 256
; AccumOffset: 256
; Occupancy: 2
; WaveLimiterHint : 0
; COMPUTE_PGM_RSRC2:SCRATCH_EN: 1
; COMPUTE_PGM_RSRC2:USER_SGPR: 16
; COMPUTE_PGM_RSRC2:TRAP_HANDLER: 0
; COMPUTE_PGM_RSRC2:TGID_X_EN: 1
; COMPUTE_PGM_RSRC2:TGID_Y_EN: 0
; COMPUTE_PGM_RSRC2:TGID_Z_EN: 1
; COMPUTE_PGM_RSRC2:TIDIG_COMP_CNT: 0
; COMPUTE_PGM_RSRC3_GFX90A:ACCUM_OFFSET: 63
; COMPUTE_PGM_RSRC3_GFX90A:TG_SPLIT: 0
	.text
	.p2alignl 6, 3212836864
	.fill 256, 4, 3212836864
	.section	.AMDGPU.gpr_maximums,"",@progbits
	.set amdgpu.max_num_vgpr, 0
	.set amdgpu.max_num_agpr, 0
	.set amdgpu.max_num_sgpr, 0
	.set amdgpu.max_num_named_barrier, 0
	.text
	.section	.debug_abbrev,"",@progbits
	.byte	1                               ; Abbreviation Code
	.byte	17                              ; DW_TAG_compile_unit
	.byte	1                               ; DW_CHILDREN_yes
	.byte	37                              ; DW_AT_producer
	.byte	14                              ; DW_FORM_strp
	.byte	19                              ; DW_AT_language
	.byte	5                               ; DW_FORM_data2
	.byte	3                               ; DW_AT_name
	.byte	14                              ; DW_FORM_strp
	.byte	16                              ; DW_AT_stmt_list
	.byte	23                              ; DW_FORM_sec_offset
	.byte	27                              ; DW_AT_comp_dir
	.byte	14                              ; DW_FORM_strp
	.byte	17                              ; DW_AT_low_pc
	.byte	1                               ; DW_FORM_addr
	.byte	18                              ; DW_AT_high_pc
	.byte	6                               ; DW_FORM_data4
	.byte	0                               ; EOM(1)
	.byte	0                               ; EOM(2)
	.byte	2                               ; Abbreviation Code
	.byte	46                              ; DW_TAG_subprogram
	.byte	0                               ; DW_CHILDREN_no
	.byte	3                               ; DW_AT_name
	.byte	14                              ; DW_FORM_strp
	.byte	32                              ; DW_AT_inline
	.byte	11                              ; DW_FORM_data1
	.byte	0                               ; EOM(1)
	.byte	0                               ; EOM(2)
	.byte	3                               ; Abbreviation Code
	.byte	46                              ; DW_TAG_subprogram
	.byte	1                               ; DW_CHILDREN_yes
	.byte	17                              ; DW_AT_low_pc
	.byte	1                               ; DW_FORM_addr
	.byte	18                              ; DW_AT_high_pc
	.byte	6                               ; DW_FORM_data4
	.byte	49                              ; DW_AT_abstract_origin
	.byte	19                              ; DW_FORM_ref4
	.byte	0                               ; EOM(1)
	.byte	0                               ; EOM(2)
	.byte	4                               ; Abbreviation Code
	.byte	29                              ; DW_TAG_inlined_subroutine
	.byte	0                               ; DW_CHILDREN_no
	.byte	49                              ; DW_AT_abstract_origin
	.byte	19                              ; DW_FORM_ref4
	.byte	85                              ; DW_AT_ranges
	.byte	23                              ; DW_FORM_sec_offset
	.byte	88                              ; DW_AT_call_file
	.byte	11                              ; DW_FORM_data1
	.byte	89                              ; DW_AT_call_line
	.byte	11                              ; DW_FORM_data1
	.byte	87                              ; DW_AT_call_column
	.byte	11                              ; DW_FORM_data1
	.byte	0                               ; EOM(1)
	.byte	0                               ; EOM(2)
	;; [unrolled: 1-line block ×3, first 2 shown]
	.section	.debug_info,"",@progbits
.Lcu_begin0:
	.long	.Ldebug_info_end0-.Ldebug_info_start0 ; Length of Unit
.Ldebug_info_start0:
	.short	4                               ; DWARF version number
	.long	.debug_abbrev                   ; Offset Into Abbrev. Section
	.byte	8                               ; Address Size (in bytes)
	.byte	1                               ; Abbrev [1] 0xb:0x50 DW_TAG_compile_unit
	.long	.Linfo_string0                  ; DW_AT_producer
	.short	2                               ; DW_AT_language
	.long	.Linfo_string1                  ; DW_AT_name
	.long	.Lline_table_start0             ; DW_AT_stmt_list
	.long	.Linfo_string2                  ; DW_AT_comp_dir
	.quad	.Lfunc_begin0                   ; DW_AT_low_pc
	.long	.Lfunc_end0-.Lfunc_begin0       ; DW_AT_high_pc
	.byte	2                               ; Abbrev [2] 0x2a:0x6 DW_TAG_subprogram
	.long	.Linfo_string3                  ; DW_AT_name
	.byte	1                               ; DW_AT_inline
	.byte	3                               ; Abbrev [3] 0x30:0x2a DW_TAG_subprogram
	.quad	.Lfunc_begin0                   ; DW_AT_low_pc
	.long	.Lfunc_end0-.Lfunc_begin0       ; DW_AT_high_pc
	.long	42                              ; DW_AT_abstract_origin
	.byte	4                               ; Abbrev [4] 0x41:0xc DW_TAG_inlined_subroutine
	.long	42                              ; DW_AT_abstract_origin
	.long	.Ldebug_ranges0                 ; DW_AT_ranges
	.byte	1                               ; DW_AT_call_file
	.byte	200                             ; DW_AT_call_line
	.byte	26                              ; DW_AT_call_column
	.byte	4                               ; Abbrev [4] 0x4d:0xc DW_TAG_inlined_subroutine
	.long	42                              ; DW_AT_abstract_origin
	.long	.Ldebug_ranges1                 ; DW_AT_ranges
	.byte	1                               ; DW_AT_call_file
	.byte	253                             ; DW_AT_call_line
	.byte	40                              ; DW_AT_call_column
	.byte	0                               ; End Of Children Mark
	.byte	0                               ; End Of Children Mark
.Ldebug_info_end0:
	.section	.debug_ranges,"",@progbits
.Ldebug_ranges0:
	.quad	.Ltmp2-.Lfunc_begin0
	.quad	.Ltmp3-.Lfunc_begin0
	;; [unrolled: 1-line block ×24, first 2 shown]
	.quad	0
	.quad	0
.Ldebug_ranges1:
	.quad	.Ltmp26-.Lfunc_begin0
	.quad	.Ltmp27-.Lfunc_begin0
	;; [unrolled: 1-line block ×6, first 2 shown]
	.quad	0
	.quad	0
	.section	.debug_str,"MS",@progbits,1
.Linfo_string0:
	.asciz	"triton"                        ; string offset=0
.Linfo_string1:
	.asciz	"attention_bwd.py"              ; string offset=7
.Linfo_string2:
	.asciz	"/root/src/amdgpu-assembly/repos/triton-lang__triton-aot" ; string offset=24
.Linfo_string3:
	.asciz	"_attn_bwd"                     ; string offset=80
	.section	".note.GNU-stack","",@progbits
	.amdgpu_metadata
---
amdhsa.kernels:
  - .agpr_count:     0
    .args:
      - .address_space:  global
        .offset:         0
        .size:           8
        .value_kind:     global_buffer
      - .address_space:  global
        .offset:         8
        .size:           8
        .value_kind:     global_buffer
      - .address_space:  global
        .offset:         16
        .size:           8
        .value_kind:     global_buffer
      - .offset:         24
        .size:           4
        .value_kind:     by_value
      - .address_space:  global
        .offset:         32
        .size:           8
        .value_kind:     global_buffer
      - .address_space:  global
        .offset:         40
        .size:           8
        .value_kind:     global_buffer
      - .address_space:  global
        .offset:         48
        .size:           8
        .value_kind:     global_buffer
      - .address_space:  global
        .offset:         56
        .size:           8
        .value_kind:     global_buffer
      - .address_space:  global
        .offset:         64
        .size:           8
        .value_kind:     global_buffer
      - .address_space:  global
        .offset:         72
        .size:           8
        .value_kind:     global_buffer
      - .offset:         80
        .size:           4
        .value_kind:     by_value
      - .offset:         84
        .size:           4
        .value_kind:     by_value
      - .offset:         88
        .size:           4
        .value_kind:     by_value
      - .offset:         92
        .size:           4
        .value_kind:     by_value
      - .offset:         96
        .size:           4
        .value_kind:     by_value
      - .offset:         100
        .size:           4
        .value_kind:     by_value
      - .address_space:  global
        .offset:         104
        .size:           8
        .value_kind:     global_buffer
      - .address_space:  global
        .offset:         112
        .size:           8
        .value_kind:     global_buffer
    .group_segment_fixed_size: 0
    .kernarg_segment_align: 8
    .kernarg_segment_size: 120
    .max_flat_workgroup_size: 512
    .name:           _attn_bwd
    .private_segment_fixed_size: 720
    .sgpr_count:     60
    .sgpr_spill_count: 0
    .symbol:         _attn_bwd.kd
    .uniform_work_group_size: 1
    .uses_dynamic_stack: false
    .vgpr_count:     256
    .vgpr_spill_count: 179
    .wavefront_size: 64
amdhsa.target:   amdgcn-amd-amdhsa--gfx90a
amdhsa.version:
  - 1
  - 2
...

	.end_amdgpu_metadata
	.section	.debug_line,"",@progbits
.Lline_table_start0:
